;; amdgpu-corpus repo=ROCm/rocFFT kind=compiled arch=gfx906 opt=O3
	.text
	.amdgcn_target "amdgcn-amd-amdhsa--gfx906"
	.amdhsa_code_object_version 6
	.protected	bluestein_single_back_len990_dim1_dp_op_CI_CI ; -- Begin function bluestein_single_back_len990_dim1_dp_op_CI_CI
	.globl	bluestein_single_back_len990_dim1_dp_op_CI_CI
	.p2align	8
	.type	bluestein_single_back_len990_dim1_dp_op_CI_CI,@function
bluestein_single_back_len990_dim1_dp_op_CI_CI: ; @bluestein_single_back_len990_dim1_dp_op_CI_CI
; %bb.0:
	s_load_dwordx4 s[8:11], s[4:5], 0x28
	s_mov_b64 s[54:55], s[2:3]
	v_mul_u32_u24_e32 v1, 0x254, v0
	s_mov_b64 s[52:53], s[0:1]
	v_add_u32_sdwa v239, s6, v1 dst_sel:DWORD dst_unused:UNUSED_PAD src0_sel:DWORD src1_sel:WORD_1
	v_mov_b32_e32 v240, 0
	s_add_u32 s52, s52, s7
	s_waitcnt lgkmcnt(0)
	v_cmp_gt_u64_e32 vcc, s[8:9], v[239:240]
	s_addc_u32 s53, s53, 0
	s_and_saveexec_b64 s[0:1], vcc
	s_cbranch_execz .LBB0_31
; %bb.1:
	s_load_dwordx4 s[0:3], s[4:5], 0x18
	s_load_dwordx2 s[16:17], s[4:5], 0x0
	s_waitcnt lgkmcnt(0)
	s_load_dwordx4 s[12:15], s[0:1], 0x0
	s_movk_i32 s0, 0x6e
	v_mul_lo_u16_sdwa v1, v1, s0 dst_sel:DWORD dst_unused:UNUSED_PAD src0_sel:WORD_1 src1_sel:DWORD
	v_sub_u16_e32 v180, v0, v1
	v_lshlrev_b32_e32 v255, 4, v180
	s_waitcnt lgkmcnt(0)
	v_mad_u64_u32 v[0:1], s[0:1], s14, v239, 0
	v_mad_u64_u32 v[2:3], s[0:1], s12, v180, 0
	v_add_co_u32_e64 v223, s[8:9], s16, v255
	v_mad_u64_u32 v[4:5], s[0:1], s15, v239, v[1:2]
	v_mad_u64_u32 v[5:6], s[0:1], s13, v180, v[3:4]
	v_mov_b32_e32 v1, v4
	v_lshlrev_b64 v[0:1], 4, v[0:1]
	v_mov_b32_e32 v6, s11
	v_mov_b32_e32 v3, v5
	v_add_co_u32_e32 v4, vcc, s10, v0
	v_addc_co_u32_e32 v5, vcc, v6, v1, vcc
	v_lshlrev_b64 v[0:1], 4, v[2:3]
	s_mul_i32 s0, s13, 0x1ef
	s_mul_hi_u32 s1, s12, 0x1ef
	v_add_co_u32_e32 v0, vcc, v4, v0
	v_mov_b32_e32 v2, s17
	s_add_i32 s1, s1, s0
	s_mul_i32 s0, s12, 0x1ef
	v_addc_co_u32_e32 v1, vcc, v5, v1, vcc
	v_addc_co_u32_e64 v229, vcc, 0, v2, s[8:9]
	s_lshl_b64 s[6:7], s[0:1], 4
	v_mov_b32_e32 v2, s7
	v_add_co_u32_e32 v4, vcc, s6, v0
	v_addc_co_u32_e32 v5, vcc, v1, v2, vcc
	s_movk_i32 s0, 0x1000
	s_mul_hi_u32 s1, s12, 0xfffffe7f
	v_add_co_u32_e32 v20, vcc, s0, v223
	s_mul_i32 s0, s13, 0xfffffe7f
	s_sub_i32 s1, s1, s12
	s_add_i32 s1, s1, s0
	s_mul_i32 s0, s12, 0xfffffe7f
	v_addc_co_u32_e32 v21, vcc, 0, v229, vcc
	s_lshl_b64 s[18:19], s[0:1], 4
	global_load_dwordx4 v[36:39], v[0:1], off
	global_load_dwordx4 v[40:43], v[4:5], off
	v_mov_b32_e32 v0, s19
	v_add_co_u32_e32 v4, vcc, s18, v4
	v_addc_co_u32_e32 v5, vcc, v5, v0, vcc
	v_add_co_u32_e32 v6, vcc, s6, v4
	v_addc_co_u32_e32 v7, vcc, v5, v2, vcc
	s_movk_i32 s0, 0x2000
	v_add_co_u32_e32 v12, vcc, s0, v223
	v_addc_co_u32_e32 v13, vcc, 0, v229, vcc
	global_load_dwordx4 v[8:11], v[20:21], off offset:3824
	global_load_dwordx4 v[84:87], v255, s[16:17]
	global_load_dwordx4 v[24:27], v255, s[16:17] offset:1760
	global_load_dwordx4 v[44:47], v[4:5], off
	global_load_dwordx4 v[48:51], v[6:7], off
	v_add_co_u32_e32 v4, vcc, s18, v6
	v_addc_co_u32_e32 v5, vcc, v7, v0, vcc
	v_add_co_u32_e32 v14, vcc, s6, v4
	v_addc_co_u32_e32 v15, vcc, v5, v2, vcc
	global_load_dwordx4 v[52:55], v[4:5], off
	global_load_dwordx4 v[16:19], v255, s[16:17] offset:3520
	global_load_dwordx4 v[56:59], v[14:15], off
	global_load_dwordx4 v[28:31], v[12:13], off offset:1488
	s_nop 0
	global_load_dwordx4 v[3:6], v[12:13], off offset:3248
	v_add_co_u32_e32 v22, vcc, s18, v14
	v_addc_co_u32_e32 v23, vcc, v15, v0, vcc
	v_add_co_u32_e32 v34, vcc, s6, v22
	v_addc_co_u32_e32 v35, vcc, v23, v2, vcc
	s_movk_i32 s0, 0x3000
	v_add_co_u32_e32 v32, vcc, s0, v223
	global_load_dwordx4 v[60:63], v[22:23], off
	global_load_dwordx4 v[12:15], v[20:21], off offset:1184
	v_addc_co_u32_e32 v33, vcc, 0, v229, vcc
	global_load_dwordx4 v[64:67], v[34:35], off
	global_load_dwordx4 v[20:23], v[32:33], off offset:912
	s_load_dwordx2 s[10:11], s[4:5], 0x38
	s_load_dwordx4 s[12:15], s[2:3], 0x0
	v_cmp_gt_u16_e64 s[0:1], 55, v180
	s_waitcnt vmcnt(12)
	v_mul_f64 v[68:69], v[38:39], v[86:87]
	v_mul_f64 v[72:73], v[42:43], v[10:11]
	s_waitcnt vmcnt(10)
	v_mul_f64 v[76:77], v[46:47], v[26:27]
	v_mul_f64 v[70:71], v[36:37], v[86:87]
	;; [unrolled: 1-line block ×4, first 2 shown]
	v_fma_f64 v[36:37], v[36:37], v[84:85], v[68:69]
	buffer_store_dword v84, off, s[52:55], 0 offset:112 ; 4-byte Folded Spill
	s_nop 0
	buffer_store_dword v85, off, s[52:55], 0 offset:116 ; 4-byte Folded Spill
	buffer_store_dword v86, off, s[52:55], 0 offset:120 ; 4-byte Folded Spill
	;; [unrolled: 1-line block ×3, first 2 shown]
	v_fma_f64 v[40:41], v[40:41], v[8:9], v[72:73]
	s_waitcnt vmcnt(9)
	v_mul_f64 v[80:81], v[50:51], v[30:31]
	buffer_store_dword v8, off, s[52:55], 0 ; 4-byte Folded Spill
	s_nop 0
	buffer_store_dword v9, off, s[52:55], 0 offset:4 ; 4-byte Folded Spill
	buffer_store_dword v10, off, s[52:55], 0 offset:8 ; 4-byte Folded Spill
	;; [unrolled: 1-line block ×3, first 2 shown]
	v_fma_f64 v[44:45], v[44:45], v[24:25], v[76:77]
	buffer_store_dword v24, off, s[52:55], 0 offset:64 ; 4-byte Folded Spill
	s_nop 0
	buffer_store_dword v25, off, s[52:55], 0 offset:68 ; 4-byte Folded Spill
	buffer_store_dword v26, off, s[52:55], 0 offset:72 ; 4-byte Folded Spill
	;; [unrolled: 1-line block ×3, first 2 shown]
	v_mul_f64 v[82:83], v[48:49], v[30:31]
	v_mul_f64 v[68:69], v[54:55], v[18:19]
	s_waitcnt vmcnt(16)
	v_mul_f64 v[72:73], v[58:59], v[5:6]
	v_fma_f64 v[48:49], v[48:49], v[28:29], v[80:81]
	buffer_store_dword v28, off, s[52:55], 0 offset:96 ; 4-byte Folded Spill
	s_nop 0
	buffer_store_dword v29, off, s[52:55], 0 offset:100 ; 4-byte Folded Spill
	buffer_store_dword v30, off, s[52:55], 0 offset:104 ; 4-byte Folded Spill
	;; [unrolled: 1-line block ×3, first 2 shown]
	s_waitcnt vmcnt(18)
	v_mul_f64 v[76:77], v[62:63], v[14:15]
	s_waitcnt vmcnt(16)
	v_mul_f64 v[80:81], v[66:67], v[22:23]
	v_fma_f64 v[38:39], v[38:39], v[84:85], -v[70:71]
	v_mul_f64 v[70:71], v[52:53], v[18:19]
	v_fma_f64 v[52:53], v[52:53], v[16:17], v[68:69]
	buffer_store_dword v16, off, s[52:55], 0 offset:32 ; 4-byte Folded Spill
	s_nop 0
	buffer_store_dword v17, off, s[52:55], 0 offset:36 ; 4-byte Folded Spill
	buffer_store_dword v18, off, s[52:55], 0 offset:40 ; 4-byte Folded Spill
	buffer_store_dword v19, off, s[52:55], 0 offset:44 ; 4-byte Folded Spill
	v_fma_f64 v[42:43], v[42:43], v[8:9], -v[74:75]
	v_mul_f64 v[74:75], v[56:57], v[5:6]
	v_fma_f64 v[56:57], v[56:57], v[3:4], v[72:73]
	buffer_store_dword v3, off, s[52:55], 0 offset:16 ; 4-byte Folded Spill
	s_nop 0
	buffer_store_dword v4, off, s[52:55], 0 offset:20 ; 4-byte Folded Spill
	buffer_store_dword v5, off, s[52:55], 0 offset:24 ; 4-byte Folded Spill
	buffer_store_dword v6, off, s[52:55], 0 offset:28 ; 4-byte Folded Spill
	;; [unrolled: 8-line block ×4, first 2 shown]
	v_fma_f64 v[54:55], v[54:55], v[16:17], -v[70:71]
	v_fma_f64 v[58:59], v[58:59], v[3:4], -v[74:75]
	;; [unrolled: 1-line block ×4, first 2 shown]
	ds_write_b128 v255, v[36:39]
	ds_write_b128 v255, v[40:43] offset:7920
	ds_write_b128 v255, v[44:47] offset:1760
	;; [unrolled: 1-line block ×7, first 2 shown]
	s_and_saveexec_b64 s[2:3], s[0:1]
	s_cbranch_execz .LBB0_3
; %bb.2:
	v_mov_b32_e32 v0, s19
	v_add_co_u32_e32 v42, vcc, s18, v34
	v_addc_co_u32_e32 v43, vcc, v35, v0, vcc
	v_add_co_u32_e32 v38, vcc, 0x1000, v223
	v_addc_co_u32_e32 v39, vcc, 0, v229, vcc
	global_load_dwordx4 v[34:37], v[42:43], off
	v_mov_b32_e32 v0, s7
	global_load_dwordx4 v[38:41], v[38:39], off offset:2944
	v_add_co_u32_e32 v50, vcc, s6, v42
	v_addc_co_u32_e32 v51, vcc, v43, v0, vcc
	global_load_dwordx4 v[42:45], v[32:33], off offset:2672
	global_load_dwordx4 v[46:49], v[50:51], off
	s_waitcnt vmcnt(2)
	v_mul_f64 v[32:33], v[36:37], v[40:41]
	v_mul_f64 v[40:41], v[34:35], v[40:41]
	s_waitcnt vmcnt(0)
	v_mul_f64 v[50:51], v[48:49], v[44:45]
	v_mul_f64 v[44:45], v[46:47], v[44:45]
	v_fma_f64 v[32:33], v[34:35], v[38:39], v[32:33]
	v_fma_f64 v[34:35], v[36:37], v[38:39], -v[40:41]
	v_fma_f64 v[36:37], v[46:47], v[42:43], v[50:51]
	v_fma_f64 v[38:39], v[48:49], v[42:43], -v[44:45]
	ds_write_b128 v255, v[32:35] offset:7040
	ds_write_b128 v255, v[36:39] offset:14960
.LBB0_3:
	s_or_b64 exec, exec, s[2:3]
	s_waitcnt vmcnt(0) lgkmcnt(0)
	s_barrier
	ds_read_b128 v[40:43], v255
	ds_read_b128 v[44:47], v255 offset:1760
	ds_read_b128 v[68:71], v255 offset:7920
	;; [unrolled: 1-line block ×7, first 2 shown]
	s_load_dwordx2 s[4:5], s[4:5], 0x8
                                        ; implicit-def: $vgpr32_vgpr33
                                        ; implicit-def: $vgpr52_vgpr53
	s_and_saveexec_b64 s[2:3], s[0:1]
	s_cbranch_execz .LBB0_5
; %bb.4:
	ds_read_b128 v[32:35], v255 offset:7040
	ds_read_b128 v[52:55], v255 offset:14960
.LBB0_5:
	s_or_b64 exec, exec, s[2:3]
	s_waitcnt lgkmcnt(0)
	v_add_f64 v[68:69], v[40:41], -v[68:69]
	v_add_f64 v[70:71], v[42:43], -v[70:71]
	;; [unrolled: 1-line block ×8, first 2 shown]
	v_fma_f64 v[40:41], v[40:41], 2.0, -v[68:69]
	v_fma_f64 v[42:43], v[42:43], 2.0, -v[70:71]
	;; [unrolled: 1-line block ×6, first 2 shown]
	v_add_f64 v[64:65], v[32:33], -v[52:53]
	v_add_f64 v[66:67], v[34:35], -v[54:55]
	v_fma_f64 v[36:37], v[36:37], 2.0, -v[56:57]
	v_fma_f64 v[38:39], v[38:39], 2.0, -v[58:59]
	s_movk_i32 s2, 0x6e
	v_add_co_u32_e32 v92, vcc, s2, v180
	s_movk_i32 s2, 0xdc
	v_lshlrev_b16_e32 v1, 1, v180
	v_add_co_u32_e32 v72, vcc, s2, v180
	s_movk_i32 s2, 0x1b8
	v_lshlrev_b32_e32 v1, 4, v1
	v_add_co_u32_e32 v0, vcc, s2, v180
	s_barrier
	ds_write_b128 v1, v[40:43]
	buffer_store_dword v1, off, s[52:55], 0 offset:132 ; 4-byte Folded Spill
	ds_write_b128 v1, v[68:71] offset:16
	v_lshlrev_b32_e32 v1, 5, v92
	ds_write_b128 v1, v[44:47]
	buffer_store_dword v1, off, s[52:55], 0 offset:136 ; 4-byte Folded Spill
	ds_write_b128 v1, v[73:76] offset:16
	v_lshlrev_b32_e32 v1, 5, v72
	v_lshlrev_b32_e32 v0, 5, v0
	v_lshlrev_b32_e32 v2, 5, v180
	ds_write_b128 v1, v[48:51]
	buffer_store_dword v1, off, s[52:55], 0 offset:140 ; 4-byte Folded Spill
	ds_write_b128 v1, v[60:63] offset:16
	ds_write_b128 v2, v[36:39] offset:10560
	;; [unrolled: 1-line block ×3, first 2 shown]
	buffer_store_dword v0, off, s[52:55], 0 offset:128 ; 4-byte Folded Spill
	s_and_saveexec_b64 s[2:3], s[0:1]
	s_cbranch_execz .LBB0_7
; %bb.6:
	buffer_load_dword v0, off, s[52:55], 0 offset:128 ; 4-byte Folded Reload
	v_fma_f64 v[34:35], v[34:35], 2.0, -v[66:67]
	v_fma_f64 v[32:33], v[32:33], 2.0, -v[64:65]
	s_waitcnt vmcnt(0)
	ds_write_b128 v0, v[32:35]
	ds_write_b128 v0, v[64:67] offset:16
.LBB0_7:
	s_or_b64 exec, exec, s[2:3]
	v_and_b32_e32 v0, 1, v180
	v_lshlrev_b32_e32 v1, 5, v0
	s_waitcnt vmcnt(0) lgkmcnt(0)
	s_barrier
	global_load_dwordx4 v[36:39], v1, s[4:5]
	global_load_dwordx4 v[32:35], v1, s[4:5] offset:16
	ds_read_b128 v[40:43], v255
	ds_read_b128 v[44:47], v255 offset:1760
	ds_read_b128 v[48:51], v255 offset:10560
	;; [unrolled: 1-line block ×8, first 2 shown]
	s_mov_b32 s2, 0xe8584caa
	s_mov_b32 s3, 0x3febb67a
	s_mov_b32 s7, 0xbfebb67a
	s_mov_b32 s6, s2
	v_lshrrev_b32_e32 v1, 1, v180
	v_lshrrev_b32_e32 v2, 1, v92
	;; [unrolled: 1-line block ×3, first 2 shown]
	s_movk_i32 s16, 0xab
	v_mul_u32_u24_e32 v1, 6, v1
	v_mul_u32_u24_e32 v2, 6, v2
	;; [unrolled: 1-line block ×3, first 2 shown]
	v_mul_lo_u16_sdwa v4, v180, s16 dst_sel:DWORD dst_unused:UNUSED_PAD src0_sel:BYTE_0 src1_sel:DWORD
	v_or_b32_e32 v1, v1, v0
	v_or_b32_e32 v2, v2, v0
	;; [unrolled: 1-line block ×3, first 2 shown]
	v_lshrrev_b16_e32 v3, 10, v4
	v_lshlrev_b32_e32 v4, 4, v2
	v_lshlrev_b32_e32 v2, 4, v0
	v_mul_lo_u16_e32 v0, 6, v3
	v_sub_u16_e32 v0, v180, v0
	v_and_b32_e32 v0, 0xff, v0
	v_mul_lo_u16_sdwa v5, v92, s16 dst_sel:DWORD dst_unused:UNUSED_PAD src0_sel:BYTE_0 src1_sel:DWORD
	v_lshlrev_b32_e32 v6, 4, v1
	v_lshlrev_b32_e32 v1, 5, v0
	s_waitcnt vmcnt(0) lgkmcnt(0)
	s_barrier
	s_mov_b32 s16, 0xaaab
	v_mov_b32_e32 v7, s5
	v_mul_u32_u24_e32 v3, 18, v3
	v_add_lshl_u32 v3, v3, v0, 4
	v_mul_f64 v[81:82], v[58:59], v[38:39]
	v_mul_f64 v[83:84], v[56:57], v[38:39]
	;; [unrolled: 1-line block ×12, first 2 shown]
	v_fma_f64 v[56:57], v[56:57], v[36:37], -v[81:82]
	v_fma_f64 v[58:59], v[58:59], v[36:37], v[83:84]
	v_fma_f64 v[48:49], v[48:49], v[32:33], -v[85:86]
	v_fma_f64 v[50:51], v[50:51], v[32:33], v[87:88]
	;; [unrolled: 2-line block ×6, first 2 shown]
	v_add_f64 v[81:82], v[40:41], v[56:57]
	v_add_f64 v[83:84], v[56:57], v[48:49]
	v_add_f64 v[85:86], v[58:59], -v[50:51]
	v_add_f64 v[87:88], v[42:43], v[58:59]
	v_add_f64 v[58:59], v[58:59], v[50:51]
	v_add_f64 v[89:90], v[56:57], -v[48:49]
	;; [unrolled: 3-line block ×6, first 2 shown]
	v_add_f64 v[48:49], v[81:82], v[48:49]
	v_fma_f64 v[73:74], v[83:84], -0.5, v[40:41]
	v_fma_f64 v[58:59], v[58:59], -0.5, v[42:43]
	;; [unrolled: 1-line block ×4, first 2 shown]
	v_add_f64 v[44:45], v[68:69], v[77:78]
	v_fma_f64 v[77:78], v[101:102], -0.5, v[60:61]
	v_add_f64 v[46:47], v[105:106], v[79:80]
	v_fma_f64 v[79:80], v[75:76], -0.5, v[62:63]
	v_add_f64 v[50:51], v[87:88], v[50:51]
	v_add_f64 v[40:41], v[56:57], v[52:53]
	;; [unrolled: 1-line block ×3, first 2 shown]
	v_fma_f64 v[52:53], v[85:86], s[2:3], v[73:74]
	v_fma_f64 v[56:57], v[85:86], s[6:7], v[73:74]
	;; [unrolled: 1-line block ×12, first 2 shown]
	ds_write_b128 v6, v[48:51]
	ds_write_b128 v6, v[52:55] offset:32
	buffer_store_dword v6, off, s[52:55], 0 offset:164 ; 4-byte Folded Spill
	ds_write_b128 v6, v[56:59] offset:64
	ds_write_b128 v4, v[40:43]
	ds_write_b128 v4, v[60:63] offset:32
	buffer_store_dword v4, off, s[52:55], 0 offset:156 ; 4-byte Folded Spill
	ds_write_b128 v4, v[68:71] offset:64
	ds_write_b128 v2, v[44:47]
	ds_write_b128 v2, v[73:76] offset:32
	buffer_store_dword v2, off, s[52:55], 0 offset:148 ; 4-byte Folded Spill
	ds_write_b128 v2, v[77:80] offset:64
	s_waitcnt vmcnt(0) lgkmcnt(0)
	s_barrier
	global_load_dwordx4 v[44:47], v1, s[4:5] offset:80
	global_load_dwordx4 v[56:59], v1, s[4:5] offset:64
	v_lshrrev_b16_e32 v1, 10, v5
	v_mul_lo_u16_e32 v2, 6, v1
	v_sub_u16_e32 v2, v92, v2
	v_and_b32_e32 v2, 0xff, v2
	v_lshlrev_b32_e32 v4, 5, v2
	global_load_dwordx4 v[40:43], v4, s[4:5] offset:80
	global_load_dwordx4 v[52:55], v4, s[4:5] offset:64
	v_mul_u32_u24_sdwa v4, v72, s16 dst_sel:DWORD dst_unused:UNUSED_PAD src0_sel:WORD_0 src1_sel:DWORD
	v_lshrrev_b32_e32 v4, 18, v4
	v_mul_lo_u16_e32 v5, 6, v4
	v_sub_u16_e32 v5, v72, v5
	v_lshlrev_b16_e32 v6, 5, v5
	v_add_co_u32_e32 v68, vcc, s4, v6
	v_addc_co_u32_e32 v69, vcc, 0, v7, vcc
	global_load_dwordx4 v[60:63], v[68:69], off offset:64
	global_load_dwordx4 v[48:51], v[68:69], off offset:80
	ds_read_b128 v[68:71], v255
	ds_read_b128 v[72:75], v255 offset:1760
	ds_read_b128 v[76:79], v255 offset:10560
	;; [unrolled: 1-line block ×8, first 2 shown]
	v_mul_u32_u24_e32 v1, 18, v1
	v_mad_legacy_u16 v4, v4, 18, v5
	v_add_lshl_u32 v1, v1, v2, 4
	v_lshlrev_b32_e32 v0, 4, v4
	s_waitcnt vmcnt(0) lgkmcnt(0)
	s_barrier
	v_mul_f64 v[109:110], v[78:79], v[46:47]
	v_mul_f64 v[105:106], v[86:87], v[58:59]
	;; [unrolled: 1-line block ×8, first 2 shown]
	v_fma_f64 v[84:85], v[84:85], v[56:57], -v[105:106]
	v_fma_f64 v[86:87], v[86:87], v[56:57], v[107:108]
	v_fma_f64 v[76:77], v[76:77], v[44:45], -v[109:110]
	v_fma_f64 v[78:79], v[78:79], v[44:45], v[111:112]
	v_fma_f64 v[80:81], v[80:81], v[40:41], -v[117:118]
	v_fma_f64 v[93:94], v[93:94], v[52:53], -v[113:114]
	v_mul_f64 v[121:122], v[99:100], v[62:63]
	v_mul_f64 v[123:124], v[97:98], v[62:63]
	v_mul_f64 v[125:126], v[103:104], v[50:51]
	v_mul_f64 v[127:128], v[101:102], v[50:51]
	v_fma_f64 v[95:96], v[95:96], v[52:53], v[115:116]
	v_fma_f64 v[82:83], v[82:83], v[40:41], v[119:120]
	v_add_f64 v[105:106], v[68:69], v[84:85]
	v_add_f64 v[107:108], v[84:85], v[76:77]
	v_fma_f64 v[97:98], v[97:98], v[60:61], -v[121:122]
	v_fma_f64 v[99:100], v[99:100], v[60:61], v[123:124]
	v_fma_f64 v[101:102], v[101:102], v[48:49], -v[125:126]
	v_fma_f64 v[103:104], v[103:104], v[48:49], v[127:128]
	v_add_f64 v[112:113], v[86:87], -v[78:79]
	v_add_f64 v[109:110], v[70:71], v[86:87]
	v_add_f64 v[86:87], v[86:87], v[78:79]
	;; [unrolled: 1-line block ×4, first 2 shown]
	v_add_f64 v[118:119], v[95:96], -v[82:83]
	v_add_f64 v[120:121], v[74:75], v[95:96]
	v_add_f64 v[95:96], v[95:96], v[82:83]
	;; [unrolled: 1-line block ×4, first 2 shown]
	v_add_f64 v[126:127], v[99:100], -v[103:104]
	v_add_f64 v[128:129], v[90:91], v[99:100]
	v_add_f64 v[99:100], v[99:100], v[103:104]
	v_add_f64 v[84:85], v[84:85], -v[76:77]
	v_add_f64 v[93:94], v[93:94], -v[80:81]
	v_add_f64 v[97:98], v[97:98], -v[101:102]
	v_add_f64 v[76:77], v[105:106], v[76:77]
	v_fma_f64 v[105:106], v[107:108], -0.5, v[68:69]
	v_add_f64 v[78:79], v[109:110], v[78:79]
	v_fma_f64 v[86:87], v[86:87], -0.5, v[70:71]
	;; [unrolled: 2-line block ×3, first 2 shown]
	v_fma_f64 v[95:96], v[95:96], -0.5, v[74:75]
	v_add_f64 v[108:109], v[122:123], v[101:102]
	v_fma_f64 v[101:102], v[124:125], -0.5, v[88:89]
	v_fma_f64 v[99:100], v[99:100], -0.5, v[90:91]
	v_add_f64 v[70:71], v[120:121], v[82:83]
	v_fma_f64 v[80:81], v[112:113], s[6:7], v[105:106]
	v_fma_f64 v[74:75], v[84:85], s[6:7], v[86:87]
	;; [unrolled: 1-line block ×8, first 2 shown]
	v_add_f64 v[110:111], v[128:129], v[103:104]
	v_fma_f64 v[72:73], v[112:113], s[2:3], v[105:106]
	v_fma_f64 v[90:91], v[93:94], s[6:7], v[95:96]
	v_fma_f64 v[112:113], v[126:127], s[2:3], v[101:102]
	v_fma_f64 v[114:115], v[97:98], s[6:7], v[99:100]
	ds_write_b128 v3, v[76:79]
	ds_write_b128 v3, v[72:75] offset:96
	buffer_store_dword v3, off, s[52:55], 0 offset:160 ; 4-byte Folded Spill
	ds_write_b128 v3, v[80:83] offset:192
	ds_write_b128 v1, v[68:71]
	ds_write_b128 v1, v[88:91] offset:96
	buffer_store_dword v1, off, s[52:55], 0 offset:152 ; 4-byte Folded Spill
	ds_write_b128 v1, v[84:87] offset:192
	;; [unrolled: 4-line block ×3, first 2 shown]
	s_waitcnt vmcnt(0) lgkmcnt(0)
	s_barrier
	ds_read_b128 v[104:107], v255
	ds_read_b128 v[132:135], v255 offset:3168
	ds_read_b128 v[128:131], v255 offset:6336
	ds_read_b128 v[124:127], v255 offset:9504
	ds_read_b128 v[120:123], v255 offset:12672
	s_movk_i32 s2, 0x58
	v_cmp_gt_u16_e64 s[2:3], s2, v180
	s_and_saveexec_b64 s[6:7], s[2:3]
	s_cbranch_execz .LBB0_9
; %bb.8:
	ds_read_b128 v[84:87], v255 offset:1760
	ds_read_b128 v[108:111], v255 offset:4928
	;; [unrolled: 1-line block ×5, first 2 shown]
.LBB0_9:
	s_or_b64 exec, exec, s[6:7]
	v_mov_b32_e32 v0, 57
	v_mul_lo_u16_sdwa v1, v180, v0 dst_sel:DWORD dst_unused:UNUSED_PAD src0_sel:BYTE_0 src1_sel:DWORD
	v_lshrrev_b16_e32 v1, 10, v1
	v_mul_lo_u16_e32 v2, 18, v1
	v_sub_u16_e32 v2, v180, v2
	v_and_b32_e32 v2, 0xff, v2
	v_lshlrev_b32_e32 v3, 6, v2
	global_load_dwordx4 v[76:79], v3, s[4:5] offset:272
	global_load_dwordx4 v[88:91], v3, s[4:5] offset:256
	;; [unrolled: 1-line block ×4, first 2 shown]
	v_mul_lo_u16_sdwa v0, v92, v0 dst_sel:DWORD dst_unused:UNUSED_PAD src0_sel:BYTE_0 src1_sel:DWORD
	v_lshrrev_b16_e32 v230, 10, v0
	v_mul_lo_u16_e32 v0, 18, v230
	v_sub_u16_e32 v0, v92, v0
	v_and_b32_e32 v240, 0xff, v0
	v_lshlrev_b32_e32 v0, 6, v240
	global_load_dwordx4 v[100:103], v0, s[4:5] offset:256
	global_load_dwordx4 v[96:99], v0, s[4:5] offset:272
	global_load_dwordx4 v[92:95], v0, s[4:5] offset:288
	global_load_dwordx4 v[68:71], v0, s[4:5] offset:304
	s_mov_b32 s20, 0x134454ff
	s_mov_b32 s21, 0x3fee6f0e
	;; [unrolled: 1-line block ×10, first 2 shown]
	v_mul_u32_u24_e32 v0, 0x5a, v1
	s_movk_i32 s16, 0x5a
	v_add_lshl_u32 v224, v0, v2, 4
	s_waitcnt vmcnt(0) lgkmcnt(0)
	s_barrier
	v_mul_f64 v[140:141], v[130:131], v[78:79]
	v_mul_f64 v[136:137], v[134:135], v[90:91]
	;; [unrolled: 1-line block ×13, first 2 shown]
	v_fma_f64 v[132:133], v[132:133], v[88:89], -v[136:137]
	v_fma_f64 v[134:135], v[134:135], v[88:89], v[138:139]
	v_fma_f64 v[128:129], v[128:129], v[76:77], -v[140:141]
	v_fma_f64 v[130:131], v[130:131], v[76:77], v[142:143]
	;; [unrolled: 2-line block ×4, first 2 shown]
	v_mul_f64 v[160:161], v[118:119], v[94:95]
	v_mul_f64 v[162:163], v[116:117], v[94:95]
	;; [unrolled: 1-line block ×3, first 2 shown]
	v_fma_f64 v[108:109], v[108:109], v[100:101], -v[152:153]
	v_fma_f64 v[110:111], v[110:111], v[100:101], v[154:155]
	v_fma_f64 v[136:137], v[112:113], v[96:97], -v[156:157]
	v_fma_f64 v[138:139], v[114:115], v[96:97], v[158:159]
	v_fma_f64 v[64:65], v[64:65], v[68:69], -v[164:165]
	v_add_f64 v[112:113], v[104:105], v[132:133]
	v_add_f64 v[114:115], v[128:129], v[124:125]
	v_add_f64 v[140:141], v[132:133], -v[128:129]
	v_add_f64 v[142:143], v[120:121], -v[124:125]
	v_add_f64 v[148:149], v[132:133], v[120:121]
	v_add_f64 v[154:155], v[106:107], v[134:135]
	;; [unrolled: 1-line block ×4, first 2 shown]
	v_fma_f64 v[144:145], v[116:117], v[92:93], -v[160:161]
	v_fma_f64 v[146:147], v[118:119], v[92:93], v[162:163]
	v_add_f64 v[116:117], v[134:135], -v[122:123]
	v_add_f64 v[118:119], v[130:131], -v[126:127]
	;; [unrolled: 1-line block ×9, first 2 shown]
	v_add_f64 v[168:169], v[84:85], v[108:109]
	v_add_f64 v[112:113], v[112:113], v[128:129]
	v_fma_f64 v[114:115], v[114:115], -0.5, v[104:105]
	v_add_f64 v[128:129], v[140:141], v[142:143]
	v_fma_f64 v[104:105], v[148:149], -0.5, v[104:105]
	;; [unrolled: 2-line block ×3, first 2 shown]
	v_fma_f64 v[106:107], v[164:165], -0.5, v[106:107]
	v_fma_f64 v[66:67], v[66:67], v[68:69], v[166:167]
	v_add_f64 v[166:167], v[126:127], -v[122:123]
	v_add_f64 v[148:149], v[150:151], v[152:153]
	v_add_f64 v[150:151], v[160:161], v[162:163]
	;; [unrolled: 1-line block ×4, first 2 shown]
	v_fma_f64 v[124:125], v[116:117], s[20:21], v[114:115]
	v_fma_f64 v[114:115], v[116:117], s[24:25], v[114:115]
	;; [unrolled: 1-line block ×3, first 2 shown]
	v_add_f64 v[126:127], v[130:131], v[126:127]
	v_fma_f64 v[130:131], v[132:133], s[24:25], v[140:141]
	v_fma_f64 v[162:163], v[158:159], s[20:21], v[106:107]
	;; [unrolled: 1-line block ×3, first 2 shown]
	v_add_f64 v[170:171], v[136:137], v[144:145]
	v_add_f64 v[134:135], v[134:135], v[166:167]
	v_fma_f64 v[104:105], v[118:119], s[20:21], v[104:105]
	v_fma_f64 v[160:161], v[132:133], s[20:21], v[140:141]
	v_add_f64 v[164:165], v[142:143], v[144:145]
	v_add_f64 v[140:141], v[112:113], v[120:121]
	v_fma_f64 v[112:113], v[118:119], s[6:7], v[124:125]
	v_fma_f64 v[114:115], v[118:119], s[22:23], v[114:115]
	;; [unrolled: 1-line block ×3, first 2 shown]
	v_add_f64 v[142:143], v[126:127], v[122:123]
	v_fma_f64 v[122:123], v[158:159], s[22:23], v[130:131]
	v_fma_f64 v[156:157], v[132:133], s[22:23], v[162:163]
	;; [unrolled: 1-line block ×3, first 2 shown]
	v_add_f64 v[172:173], v[110:111], -v[66:67]
	v_add_f64 v[181:182], v[108:109], v[64:65]
	v_add_f64 v[183:184], v[138:139], v[146:147]
	v_fma_f64 v[152:153], v[170:171], -0.5, v[84:85]
	v_fma_f64 v[104:105], v[116:117], s[22:23], v[104:105]
	v_fma_f64 v[126:127], v[158:159], s[6:7], v[160:161]
	v_fma_f64 v[112:113], v[128:129], s[18:19], v[112:113]
	v_fma_f64 v[128:129], v[128:129], s[18:19], v[114:115]
	v_fma_f64 v[116:117], v[148:149], s[18:19], v[118:119]
	v_fma_f64 v[114:115], v[150:151], s[18:19], v[122:123]
	v_fma_f64 v[118:119], v[134:135], s[18:19], v[156:157]
	v_fma_f64 v[122:123], v[134:135], s[18:19], v[106:107]
	v_add_f64 v[134:135], v[110:111], v[66:67]
	v_add_f64 v[174:175], v[138:139], -v[146:147]
	v_add_f64 v[176:177], v[108:109], -v[136:137]
	;; [unrolled: 1-line block ×3, first 2 shown]
	v_fma_f64 v[84:85], v[181:182], -0.5, v[84:85]
	v_fma_f64 v[166:167], v[172:173], s[20:21], v[152:153]
	v_add_f64 v[124:125], v[164:165], v[64:65]
	v_fma_f64 v[120:121], v[148:149], s[18:19], v[104:105]
	v_fma_f64 v[130:131], v[150:151], s[18:19], v[126:127]
	v_fma_f64 v[104:105], v[172:173], s[24:25], v[152:153]
	v_add_f64 v[126:127], v[136:137], -v[108:109]
	v_add_f64 v[148:149], v[144:145], -v[64:65]
	v_add_f64 v[150:151], v[86:87], v[110:111]
	v_fma_f64 v[152:153], v[183:184], -0.5, v[86:87]
	v_add_f64 v[64:65], v[108:109], -v[64:65]
	v_add_f64 v[108:109], v[136:137], -v[144:145]
	v_fma_f64 v[86:87], v[134:135], -0.5, v[86:87]
	v_fma_f64 v[106:107], v[174:175], s[24:25], v[84:85]
	v_fma_f64 v[84:85], v[174:175], s[20:21], v[84:85]
	v_add_f64 v[126:127], v[126:127], v[148:149]
	v_add_f64 v[134:135], v[150:151], v[138:139]
	v_add_f64 v[144:145], v[110:111], -v[138:139]
	v_fma_f64 v[136:137], v[64:65], s[24:25], v[152:153]
	v_add_f64 v[148:149], v[66:67], -v[146:147]
	v_fma_f64 v[150:151], v[64:65], s[20:21], v[152:153]
	v_fma_f64 v[152:153], v[108:109], s[20:21], v[86:87]
	v_add_f64 v[110:111], v[138:139], -v[110:111]
	v_add_f64 v[138:139], v[146:147], -v[66:67]
	v_fma_f64 v[86:87], v[108:109], s[24:25], v[86:87]
	v_add_f64 v[154:155], v[176:177], v[178:179]
	v_fma_f64 v[132:133], v[174:175], s[6:7], v[166:167]
	v_fma_f64 v[104:105], v[174:175], s[22:23], v[104:105]
	v_fma_f64 v[106:107], v[172:173], s[6:7], v[106:107]
	v_fma_f64 v[84:85], v[172:173], s[22:23], v[84:85]
	v_add_f64 v[134:135], v[134:135], v[146:147]
	v_fma_f64 v[146:147], v[108:109], s[22:23], v[136:137]
	v_add_f64 v[156:157], v[144:145], v[148:149]
	v_fma_f64 v[108:109], v[108:109], s[6:7], v[150:151]
	v_fma_f64 v[150:151], v[64:65], s[22:23], v[152:153]
	v_add_f64 v[110:111], v[110:111], v[138:139]
	v_fma_f64 v[64:65], v[64:65], s[6:7], v[86:87]
	v_fma_f64 v[132:133], v[154:155], s[18:19], v[132:133]
	;; [unrolled: 1-line block ×5, first 2 shown]
	v_add_f64 v[126:127], v[134:135], v[66:67]
	v_fma_f64 v[134:135], v[156:157], s[18:19], v[146:147]
	v_fma_f64 v[138:139], v[156:157], s[18:19], v[108:109]
	;; [unrolled: 1-line block ×4, first 2 shown]
	ds_write_b128 v224, v[140:143]
	ds_write_b128 v224, v[112:115] offset:288
	ds_write_b128 v224, v[116:119] offset:576
	;; [unrolled: 1-line block ×4, first 2 shown]
	s_and_saveexec_b64 s[6:7], s[2:3]
	s_cbranch_execz .LBB0_11
; %bb.10:
	v_mul_u32_u24_e32 v0, 0x5a, v230
	v_add_lshl_u32 v0, v0, v240, 4
	ds_write_b128 v0, v[124:127]
	ds_write_b128 v0, v[132:135] offset:288
	ds_write_b128 v0, v[144:147] offset:576
	;; [unrolled: 1-line block ×4, first 2 shown]
.LBB0_11:
	s_or_b64 exec, exec, s[6:7]
	v_cmp_gt_u16_e64 s[6:7], s16, v180
	s_waitcnt lgkmcnt(0)
	s_barrier
	s_waitcnt lgkmcnt(0)
                                        ; implicit-def: $vgpr152_vgpr153
	s_and_saveexec_b64 s[18:19], s[6:7]
	s_cbranch_execz .LBB0_13
; %bb.12:
	ds_read_b128 v[140:143], v255
	ds_read_b128 v[112:115], v255 offset:1440
	ds_read_b128 v[116:119], v255 offset:2880
	ds_read_b128 v[120:123], v255 offset:4320
	ds_read_b128 v[128:131], v255 offset:5760
	ds_read_b128 v[124:127], v255 offset:7200
	ds_read_b128 v[132:135], v255 offset:8640
	ds_read_b128 v[144:147], v255 offset:10080
	ds_read_b128 v[148:151], v255 offset:11520
	ds_read_b128 v[136:139], v255 offset:12960
	ds_read_b128 v[152:155], v255 offset:14400
.LBB0_13:
	s_or_b64 exec, exec, s[18:19]
	v_add_u32_e32 v0, 0xffffffa6, v180
	v_cndmask_b32_e64 v0, v0, v180, s[6:7]
	v_mul_hi_i32_i24_e32 v1, 0xa0, v0
	v_mul_i32_i24_e32 v0, 0xa0, v0
	v_add_co_u32_e32 v156, vcc, s4, v0
	v_mov_b32_e32 v0, s5
	v_addc_co_u32_e32 v157, vcc, v0, v1, vcc
	global_load_dwordx4 v[108:111], v[156:157], off offset:1456
	global_load_dwordx4 v[104:107], v[156:157], off offset:1440
	;; [unrolled: 1-line block ×4, first 2 shown]
	s_mov_b32 s20, 0xf8bb580b
	s_mov_b32 s21, 0xbfe14ced
	s_mov_b32 s4, 0x8764f0ba
	s_mov_b32 s22, 0x8eee2c13
	s_mov_b32 s5, 0x3feaeb8c
	s_mov_b32 s23, 0xbfed1bb4
	s_mov_b32 s18, 0xd9c712b6
	s_mov_b32 s19, 0x3fda9628
	s_mov_b32 s34, 0xbb3a28a1
	s_mov_b32 s35, 0xbfe82f19
	s_mov_b32 s28, 0x7f775887
	s_mov_b32 s29, 0xbfe4f49e
	s_mov_b32 s26, 0x43842ef
	s_mov_b32 s36, 0xfd768dbf
	s_mov_b32 s27, 0xbfefac9e
	s_mov_b32 s37, 0x3fd207e7
	s_mov_b32 s24, 0x640f44db
	s_mov_b32 s25, 0xbfc2375f
	s_mov_b32 s30, 0x9bcd5057
	s_mov_b32 s31, 0xbfeeb42a
	s_mov_b32 s39, 0x3fed1bb4
	s_mov_b32 s38, s22
	s_mov_b32 s43, 0x3fefac9e
	s_mov_b32 s42, s26
	s_mov_b32 s45, 0xbfd207e7
	s_mov_b32 s44, s36
	s_mov_b32 s47, 0x3fe14ced
	s_mov_b32 s46, s20
	s_waitcnt vmcnt(0) lgkmcnt(9)
	v_mul_f64 v[158:159], v[114:115], v[86:87]
	v_fma_f64 v[12:13], v[112:113], v[84:85], -v[158:159]
	v_mul_f64 v[112:113], v[112:113], v[86:87]
	v_fma_f64 v[14:15], v[114:115], v[84:85], v[112:113]
	s_waitcnt lgkmcnt(8)
	v_mul_f64 v[112:113], v[118:119], v[66:67]
	v_fma_f64 v[8:9], v[116:117], v[64:65], -v[112:113]
	v_mul_f64 v[112:113], v[116:117], v[66:67]
	v_fma_f64 v[10:11], v[118:119], v[64:65], v[112:113]
	s_waitcnt lgkmcnt(7)
	;; [unrolled: 5-line block ×3, first 2 shown]
	v_mul_f64 v[112:113], v[130:131], v[110:111]
	v_fma_f64 v[0:1], v[128:129], v[108:109], -v[112:113]
	v_mul_f64 v[112:113], v[128:129], v[110:111]
	v_fma_f64 v[2:3], v[130:131], v[108:109], v[112:113]
	global_load_dwordx4 v[112:115], v[156:157], off offset:1520
	global_load_dwordx4 v[116:119], v[156:157], off offset:1504
	;; [unrolled: 1-line block ×4, first 2 shown]
	s_waitcnt vmcnt(0) lgkmcnt(5)
	v_mul_f64 v[158:159], v[126:127], v[130:131]
	v_fma_f64 v[28:29], v[124:125], v[128:129], -v[158:159]
	v_mul_f64 v[124:125], v[124:125], v[130:131]
	v_fma_f64 v[30:31], v[126:127], v[128:129], v[124:125]
	s_waitcnt lgkmcnt(4)
	v_mul_f64 v[124:125], v[134:135], v[122:123]
	v_fma_f64 v[24:25], v[132:133], v[120:121], -v[124:125]
	v_mul_f64 v[124:125], v[132:133], v[122:123]
	v_add_f64 v[217:218], v[28:29], v[24:25]
	v_fma_f64 v[26:27], v[134:135], v[120:121], v[124:125]
	s_waitcnt lgkmcnt(3)
	v_mul_f64 v[124:125], v[146:147], v[118:119]
	v_add_f64 v[219:220], v[28:29], -v[24:25]
	v_add_f64 v[170:171], v[30:31], -v[26:27]
	v_fma_f64 v[20:21], v[144:145], v[116:117], -v[124:125]
	v_mul_f64 v[124:125], v[144:145], v[118:119]
	v_add_f64 v[221:222], v[30:31], v[26:27]
	v_mul_f64 v[160:161], v[219:220], s[44:45]
	v_mul_f64 v[164:165], v[219:220], s[46:47]
	;; [unrolled: 1-line block ×4, first 2 shown]
	v_add_f64 v[253:254], v[0:1], v[20:21]
	v_fma_f64 v[22:23], v[146:147], v[116:117], v[124:125]
	s_waitcnt lgkmcnt(2)
	v_mul_f64 v[124:125], v[150:151], v[114:115]
	v_add_f64 v[199:200], v[0:1], -v[20:21]
	v_mul_f64 v[166:167], v[170:171], s[34:35]
	v_add_f64 v[201:202], v[2:3], -v[22:23]
	v_fma_f64 v[16:17], v[148:149], v[112:113], -v[124:125]
	v_mul_f64 v[124:125], v[148:149], v[114:115]
	v_mul_f64 v[197:198], v[199:200], s[34:35]
	;; [unrolled: 1-line block ×4, first 2 shown]
	v_add_f64 v[247:248], v[4:5], -v[16:17]
	v_fma_f64 v[18:19], v[150:151], v[112:113], v[124:125]
	global_load_dwordx4 v[124:127], v[156:157], off offset:1552
	global_load_dwordx4 v[132:135], v[156:157], off offset:1536
	v_add_f64 v[245:246], v[4:5], v[16:17]
	v_mul_f64 v[205:206], v[201:202], s[42:43]
	v_mul_f64 v[213:214], v[201:202], s[20:21]
	v_add_f64 v[249:250], v[6:7], -v[18:19]
	v_add_f64 v[251:252], v[6:7], v[18:19]
	v_fma_f64 v[158:159], v[253:254], s[4:5], v[213:214]
	v_mul_f64 v[243:244], v[249:250], s[26:27]
	s_waitcnt vmcnt(0) lgkmcnt(1)
	v_mul_f64 v[144:145], v[138:139], v[134:135]
	v_fma_f64 v[174:175], v[136:137], v[132:133], -v[144:145]
	v_mul_f64 v[136:137], v[136:137], v[134:135]
	v_add_f64 v[231:232], v[8:9], v[174:175]
	v_fma_f64 v[176:177], v[138:139], v[132:133], v[136:137]
	s_waitcnt lgkmcnt(0)
	v_mul_f64 v[136:137], v[154:155], v[126:127]
	v_add_f64 v[233:234], v[8:9], -v[174:175]
	v_add_f64 v[235:236], v[10:11], -v[176:177]
	v_fma_f64 v[172:173], v[152:153], v[124:125], -v[136:137]
	v_mul_f64 v[136:137], v[152:153], v[126:127]
	v_add_f64 v[237:238], v[10:11], v[176:177]
	v_mul_f64 v[187:188], v[233:234], s[22:23]
	v_mul_f64 v[241:242], v[233:234], s[34:35]
	;; [unrolled: 1-line block ×4, first 2 shown]
	v_add_f64 v[203:204], v[12:13], v[172:173]
	v_fma_f64 v[152:153], v[154:155], v[124:125], v[136:137]
	v_add_f64 v[207:208], v[12:13], -v[172:173]
	v_mul_f64 v[193:194], v[235:236], s[34:35]
	v_fma_f64 v[154:155], v[231:232], s[18:19], v[185:186]
	v_add_f64 v[211:212], v[14:15], -v[152:153]
	v_add_f64 v[215:216], v[14:15], v[152:153]
	v_mul_f64 v[181:182], v[207:208], s[20:21]
	v_mul_f64 v[191:192], v[207:208], s[22:23]
	;; [unrolled: 1-line block ×3, first 2 shown]
	buffer_store_dword v150, off, s[52:55], 0 offset:184 ; 4-byte Folded Spill
	s_nop 0
	buffer_store_dword v151, off, s[52:55], 0 offset:188 ; 4-byte Folded Spill
	v_mul_f64 v[178:179], v[211:212], s[20:21]
	v_fma_f64 v[138:139], v[215:216], s[4:5], -v[181:182]
	v_mul_f64 v[183:184], v[211:212], s[22:23]
	v_fma_f64 v[146:147], v[215:216], s[18:19], -v[191:192]
	v_mul_f64 v[189:190], v[211:212], s[26:27]
	v_fma_f64 v[136:137], v[203:204], s[4:5], v[178:179]
	v_add_f64 v[138:139], v[142:143], v[138:139]
	v_fma_f64 v[144:145], v[203:204], s[18:19], v[183:184]
	v_add_f64 v[146:147], v[142:143], v[146:147]
	;; [unrolled: 2-line block ×3, first 2 shown]
	v_add_f64 v[144:145], v[140:141], v[144:145]
	v_add_f64 v[148:149], v[140:141], v[148:149]
	;; [unrolled: 1-line block ×3, first 2 shown]
	v_fma_f64 v[154:155], v[237:238], s[18:19], -v[187:188]
	v_add_f64 v[138:139], v[154:155], v[138:139]
	v_fma_f64 v[154:155], v[231:232], s[28:29], v[193:194]
	v_add_f64 v[144:145], v[154:155], v[144:145]
	v_fma_f64 v[154:155], v[237:238], s[28:29], -v[241:242]
	v_add_f64 v[146:147], v[154:155], v[146:147]
	v_mul_f64 v[154:155], v[235:236], s[36:37]
	buffer_store_dword v154, off, s[52:55], 0 offset:192 ; 4-byte Folded Spill
	s_nop 0
	buffer_store_dword v155, off, s[52:55], 0 offset:196 ; 4-byte Folded Spill
	buffer_store_dword v156, off, s[52:55], 0 offset:216 ; 4-byte Folded Spill
	s_nop 0
	buffer_store_dword v157, off, s[52:55], 0 offset:220 ; 4-byte Folded Spill
	v_fma_f64 v[150:151], v[215:216], s[24:25], -v[150:151]
	v_add_f64 v[150:151], v[142:143], v[150:151]
	v_fma_f64 v[154:155], v[231:232], s[30:31], v[154:155]
	v_add_f64 v[148:149], v[154:155], v[148:149]
	v_fma_f64 v[154:155], v[237:238], s[30:31], -v[156:157]
	v_mul_f64 v[156:157], v[247:248], s[26:27]
	buffer_store_dword v156, off, s[52:55], 0 offset:168 ; 4-byte Folded Spill
	s_nop 0
	buffer_store_dword v157, off, s[52:55], 0 offset:172 ; 4-byte Folded Spill
	v_add_f64 v[150:151], v[154:155], v[150:151]
	v_fma_f64 v[154:155], v[245:246], s[24:25], v[243:244]
	v_add_f64 v[136:137], v[154:155], v[136:137]
	v_fma_f64 v[154:155], v[251:252], s[24:25], -v[156:157]
	v_mul_f64 v[156:157], v[247:248], s[36:37]
	v_add_f64 v[138:139], v[154:155], v[138:139]
	v_mul_f64 v[154:155], v[249:250], s[36:37]
	buffer_store_dword v154, off, s[52:55], 0 offset:176 ; 4-byte Folded Spill
	s_nop 0
	buffer_store_dword v155, off, s[52:55], 0 offset:180 ; 4-byte Folded Spill
	buffer_store_dword v156, off, s[52:55], 0 offset:200 ; 4-byte Folded Spill
	s_nop 0
	buffer_store_dword v157, off, s[52:55], 0 offset:204 ; 4-byte Folded Spill
	v_fma_f64 v[154:155], v[245:246], s[30:31], v[154:155]
	v_add_f64 v[144:145], v[154:155], v[144:145]
	v_fma_f64 v[154:155], v[251:252], s[30:31], -v[156:157]
	v_mul_f64 v[156:157], v[247:248], s[38:39]
	v_add_f64 v[146:147], v[154:155], v[146:147]
	v_mul_f64 v[154:155], v[249:250], s[38:39]
	buffer_store_dword v154, off, s[52:55], 0 offset:208 ; 4-byte Folded Spill
	s_nop 0
	buffer_store_dword v155, off, s[52:55], 0 offset:212 ; 4-byte Folded Spill
	buffer_store_dword v156, off, s[52:55], 0 offset:224 ; 4-byte Folded Spill
	s_nop 0
	buffer_store_dword v157, off, s[52:55], 0 offset:228 ; 4-byte Folded Spill
	v_fma_f64 v[154:155], v[245:246], s[18:19], v[154:155]
	v_add_f64 v[148:149], v[154:155], v[148:149]
	v_fma_f64 v[154:155], v[251:252], s[18:19], -v[156:157]
	v_fma_f64 v[156:157], v[253:254], s[28:29], v[195:196]
	v_add_f64 v[225:226], v[158:159], v[148:149]
	v_add_f64 v[150:151], v[154:155], v[150:151]
	;; [unrolled: 1-line block ×4, first 2 shown]
	v_mul_f64 v[158:159], v[170:171], s[44:45]
	v_fma_f64 v[156:157], v[154:155], s[28:29], -v[197:198]
	v_add_f64 v[138:139], v[156:157], v[138:139]
	v_fma_f64 v[156:157], v[253:254], s[24:25], v[205:206]
	v_add_f64 v[144:145], v[156:157], v[144:145]
	v_fma_f64 v[156:157], v[154:155], s[24:25], -v[209:210]
	v_add_f64 v[146:147], v[156:157], v[146:147]
	v_mul_f64 v[156:157], v[199:200], s[20:21]
	v_fma_f64 v[148:149], v[154:155], s[4:5], -v[156:157]
	v_add_f64 v[227:228], v[148:149], v[150:151]
	v_fma_f64 v[148:149], v[217:218], s[30:31], v[158:159]
	v_add_f64 v[136:137], v[148:149], v[136:137]
	v_fma_f64 v[148:149], v[221:222], s[30:31], -v[160:161]
	v_add_f64 v[138:139], v[148:149], v[138:139]
	v_fma_f64 v[148:149], v[217:218], s[4:5], v[162:163]
	v_add_f64 v[148:149], v[148:149], v[144:145]
	v_fma_f64 v[144:145], v[221:222], s[4:5], -v[164:165]
	v_add_f64 v[150:151], v[144:145], v[146:147]
	v_fma_f64 v[144:145], v[217:218], s[28:29], v[166:167]
	v_fma_f64 v[146:147], v[221:222], s[28:29], -v[168:169]
	v_add_f64 v[144:145], v[144:145], v[225:226]
	v_add_f64 v[146:147], v[146:147], v[227:228]
	s_and_saveexec_b64 s[40:41], s[6:7]
	s_cbranch_execz .LBB0_15
; %bb.14:
	v_mul_f64 v[225:226], v[203:204], s[4:5]
	v_mul_f64 v[227:228], v[237:238], s[4:5]
	s_mov_b32 s49, 0x3fe82f19
	s_mov_b32 s48, s34
	buffer_store_dword v225, off, s[52:55], 0 offset:264 ; 4-byte Folded Spill
	s_nop 0
	buffer_store_dword v226, off, s[52:55], 0 offset:268 ; 4-byte Folded Spill
	v_mul_f64 v[225:226], v[215:216], s[4:5]
	buffer_store_dword v225, off, s[52:55], 0 offset:328 ; 4-byte Folded Spill
	s_nop 0
	buffer_store_dword v226, off, s[52:55], 0 offset:332 ; 4-byte Folded Spill
	v_mul_f64 v[225:226], v[203:204], s[18:19]
	buffer_store_dword v225, off, s[52:55], 0 offset:280 ; 4-byte Folded Spill
	s_nop 0
	buffer_store_dword v226, off, s[52:55], 0 offset:284 ; 4-byte Folded Spill
	buffer_store_dword v176, off, s[52:55], 0 offset:232 ; 4-byte Folded Spill
	s_nop 0
	buffer_store_dword v177, off, s[52:55], 0 offset:236 ; 4-byte Folded Spill
	v_mul_f64 v[225:226], v[203:204], s[24:25]
	v_mul_f64 v[176:177], v[215:216], s[18:19]
	buffer_store_dword v225, off, s[52:55], 0 offset:448 ; 4-byte Folded Spill
	s_nop 0
	buffer_store_dword v226, off, s[52:55], 0 offset:452 ; 4-byte Folded Spill
	buffer_store_dword v181, off, s[52:55], 0 offset:344 ; 4-byte Folded Spill
	s_nop 0
	buffer_store_dword v182, off, s[52:55], 0 offset:348 ; 4-byte Folded Spill
	v_mul_f64 v[225:226], v[231:232], s[18:19]
	v_mul_f64 v[181:182], v[215:216], s[24:25]
	buffer_store_dword v225, off, s[52:55], 0 offset:288 ; 4-byte Folded Spill
	s_nop 0
	buffer_store_dword v226, off, s[52:55], 0 offset:292 ; 4-byte Folded Spill
	v_mul_f64 v[225:226], v[237:238], s[18:19]
	buffer_store_dword v225, off, s[52:55], 0 offset:312 ; 4-byte Folded Spill
	s_nop 0
	buffer_store_dword v226, off, s[52:55], 0 offset:316 ; 4-byte Folded Spill
	;; [unrolled: 4-line block ×3, first 2 shown]
	buffer_store_dword v0, off, s[52:55], 0 offset:368 ; 4-byte Folded Spill
	s_nop 0
	buffer_store_dword v1, off, s[52:55], 0 offset:372 ; 4-byte Folded Spill
	v_mul_f64 v[0:1], v[237:238], s[28:29]
	v_mul_f64 v[225:226], v[211:212], s[44:45]
	buffer_store_dword v0, off, s[52:55], 0 offset:472 ; 4-byte Folded Spill
	s_nop 0
	buffer_store_dword v1, off, s[52:55], 0 offset:476 ; 4-byte Folded Spill
	buffer_store_dword v2, off, s[52:55], 0 offset:392 ; 4-byte Folded Spill
	s_nop 0
	buffer_store_dword v3, off, s[52:55], 0 offset:396 ; 4-byte Folded Spill
	v_mul_f64 v[0:1], v[231:232], s[30:31]
	v_mul_f64 v[2:3], v[251:252], s[18:19]
	buffer_store_dword v0, off, s[52:55], 0 offset:432 ; 4-byte Folded Spill
	s_nop 0
	buffer_store_dword v1, off, s[52:55], 0 offset:436 ; 4-byte Folded Spill
	buffer_store_dword v4, off, s[52:55], 0 offset:400 ; 4-byte Folded Spill
	s_nop 0
	buffer_store_dword v5, off, s[52:55], 0 offset:404 ; 4-byte Folded Spill
	v_mul_f64 v[0:1], v[245:246], s[24:25]
	v_mul_f64 v[4:5], v[237:238], s[30:31]
	buffer_store_dword v0, off, s[52:55], 0 offset:248 ; 4-byte Folded Spill
	s_nop 0
	buffer_store_dword v1, off, s[52:55], 0 offset:252 ; 4-byte Folded Spill
	v_mul_f64 v[0:1], v[251:252], s[24:25]
	buffer_store_dword v0, off, s[52:55], 0 offset:296 ; 4-byte Folded Spill
	s_nop 0
	buffer_store_dword v1, off, s[52:55], 0 offset:300 ; 4-byte Folded Spill
	v_mul_f64 v[0:1], v[245:246], s[30:31]
	buffer_store_dword v0, off, s[52:55], 0 offset:320 ; 4-byte Folded Spill
	s_nop 0
	buffer_store_dword v1, off, s[52:55], 0 offset:324 ; 4-byte Folded Spill
	;; [unrolled: 4-line block ×9, first 2 shown]
	buffer_store_dword v16, off, s[52:55], 0 offset:256 ; 4-byte Folded Spill
	s_nop 0
	buffer_store_dword v17, off, s[52:55], 0 offset:260 ; 4-byte Folded Spill
	v_mul_f64 v[0:1], v[217:218], s[30:31]
	buffer_store_dword v18, off, s[52:55], 0 offset:384 ; 4-byte Folded Spill
	s_nop 0
	buffer_store_dword v19, off, s[52:55], 0 offset:388 ; 4-byte Folded Spill
	v_mul_f64 v[18:19], v[215:216], s[30:31]
	v_mul_f64 v[16:17], v[154:155], s[4:5]
	buffer_store_dword v0, off, s[52:55], 0 offset:352 ; 4-byte Folded Spill
	s_nop 0
	buffer_store_dword v1, off, s[52:55], 0 offset:356 ; 4-byte Folded Spill
	v_mul_f64 v[0:1], v[221:222], s[30:31]
	buffer_store_dword v0, off, s[52:55], 0 offset:360 ; 4-byte Folded Spill
	s_nop 0
	buffer_store_dword v1, off, s[52:55], 0 offset:364 ; 4-byte Folded Spill
	v_mul_f64 v[0:1], v[217:218], s[4:5]
	v_add_f64 v[16:17], v[156:157], v[16:17]
	buffer_store_dword v0, off, s[52:55], 0 offset:376 ; 4-byte Folded Spill
	s_nop 0
	buffer_store_dword v1, off, s[52:55], 0 offset:380 ; 4-byte Folded Spill
	v_mul_f64 v[0:1], v[221:222], s[4:5]
	buffer_store_dword v0, off, s[52:55], 0 offset:496 ; 4-byte Folded Spill
	s_nop 0
	buffer_store_dword v1, off, s[52:55], 0 offset:500 ; 4-byte Folded Spill
	buffer_store_dword v22, off, s[52:55], 0 offset:488 ; 4-byte Folded Spill
	s_nop 0
	buffer_store_dword v23, off, s[52:55], 0 offset:492 ; 4-byte Folded Spill
	;; [unrolled: 3-line block ×8, first 2 shown]
	v_fma_f64 v[174:175], v[207:208], s[36:37], v[18:19]
	v_mul_f64 v[187:188], v[235:236], s[46:47]
	v_fma_f64 v[24:25], v[203:204], s[30:31], v[225:226]
	buffer_store_dword v26, off, s[52:55], 0 offset:528 ; 4-byte Folded Spill
	s_nop 0
	buffer_store_dword v27, off, s[52:55], 0 offset:532 ; 4-byte Folded Spill
	buffer_store_dword v183, off, s[52:55], 0 offset:552 ; 4-byte Folded Spill
	s_nop 0
	buffer_store_dword v184, off, s[52:55], 0 offset:556 ; 4-byte Folded Spill
	;; [unrolled: 3-line block ×3, first 2 shown]
	v_mov_b32_e32 v244, v179
	v_mov_b32_e32 v243, v178
	v_mov_b32_e32 v179, v31
	buffer_store_dword v152, off, s[52:55], 0 offset:504 ; 4-byte Folded Spill
	s_nop 0
	buffer_store_dword v153, off, s[52:55], 0 offset:508 ; 4-byte Folded Spill
	v_mul_f64 v[172:173], v[251:252], s[28:29]
	v_fma_f64 v[26:27], v[233:234], s[20:21], v[227:228]
	v_add_f64 v[174:175], v[142:143], v[174:175]
	v_mov_b32_e32 v178, v30
	v_mul_f64 v[30:31], v[249:250], s[34:35]
	v_fma_f64 v[152:153], v[231:232], s[4:5], v[187:188]
	v_add_f64 v[24:25], v[140:141], v[24:25]
	v_mov_b32_e32 v184, v29
	v_mov_b32_e32 v0, v191
	;; [unrolled: 1-line block ×3, first 2 shown]
	v_mul_f64 v[185:186], v[154:155], s[18:19]
	v_fma_f64 v[18:19], v[207:208], s[44:45], v[18:19]
	v_mov_b32_e32 v183, v28
	v_fma_f64 v[28:29], v[247:248], s[48:49], v[172:173]
	v_add_f64 v[26:27], v[26:27], v[174:175]
	v_mov_b32_e32 v1, v192
	v_mul_f64 v[191:192], v[201:202], s[38:39]
	v_fma_f64 v[225:226], v[203:204], s[30:31], -v[225:226]
	v_mov_b32_e32 v23, v194
	v_fma_f64 v[193:194], v[245:246], s[28:29], v[30:31]
	v_add_f64 v[24:25], v[152:153], v[24:25]
	v_fma_f64 v[227:228], v[233:234], s[46:47], v[227:228]
	v_add_f64 v[18:19], v[142:143], v[18:19]
	v_fma_f64 v[174:175], v[199:200], s[22:23], v[185:186]
	v_fma_f64 v[152:153], v[247:248], s[34:35], v[172:173]
	v_add_f64 v[26:27], v[28:29], v[26:27]
	v_mul_f64 v[28:29], v[170:171], s[26:27]
	v_fma_f64 v[172:173], v[231:232], s[4:5], -v[187:188]
	v_add_f64 v[187:188], v[140:141], v[225:226]
	v_fma_f64 v[225:226], v[253:254], s[18:19], v[191:192]
	v_add_f64 v[24:25], v[193:194], v[24:25]
	v_mov_b32_e32 v20, v239
	v_mov_b32_e32 v239, v229
	;; [unrolled: 1-line block ×4, first 2 shown]
	v_mul_f64 v[229:230], v[221:222], s[24:25]
	v_add_f64 v[18:19], v[227:228], v[18:19]
	v_add_f64 v[26:27], v[174:175], v[26:27]
	v_fma_f64 v[174:175], v[217:218], s[24:25], v[28:29]
	v_add_f64 v[24:25], v[225:226], v[24:25]
	v_fma_f64 v[185:186], v[199:200], s[38:39], v[185:186]
	v_fma_f64 v[30:31], v[245:246], s[28:29], -v[30:31]
	v_add_f64 v[172:173], v[172:173], v[187:188]
	v_fma_f64 v[187:188], v[219:220], s[26:27], v[229:230]
	v_add_f64 v[18:19], v[152:153], v[18:19]
	v_fma_f64 v[152:153], v[219:220], s[42:43], v[229:230]
	v_fma_f64 v[191:192], v[253:254], s[18:19], -v[191:192]
	v_add_f64 v[225:226], v[174:175], v[24:25]
	v_mul_f64 v[24:25], v[215:216], s[28:29]
	v_mul_f64 v[193:194], v[221:222], s[28:29]
	v_add_f64 v[30:31], v[30:31], v[172:173]
	v_mul_f64 v[170:171], v[170:171], s[38:39]
	v_add_f64 v[18:19], v[185:186], v[18:19]
	v_add_f64 v[227:228], v[152:153], v[26:27]
	v_fma_f64 v[26:27], v[217:218], s[24:25], -v[28:29]
	v_mul_f64 v[28:29], v[211:212], s[34:35]
	v_mul_f64 v[152:153], v[237:238], s[24:25]
	v_fma_f64 v[172:173], v[207:208], s[34:35], v[24:25]
	v_add_f64 v[30:31], v[191:192], v[30:31]
	v_fma_f64 v[24:25], v[207:208], s[48:49], v[24:25]
	v_add_f64 v[215:216], v[187:188], v[18:19]
	v_mul_f64 v[187:188], v[235:236], s[42:43]
	v_mul_f64 v[207:208], v[251:252], s[4:5]
	v_fma_f64 v[191:192], v[203:204], s[28:29], v[28:29]
	v_fma_f64 v[211:212], v[233:234], s[26:27], v[152:153]
	;; [unrolled: 1-line block ×3, first 2 shown]
	v_add_f64 v[172:173], v[142:143], v[172:173]
	v_mul_f64 v[18:19], v[154:155], s[30:31]
	v_mul_f64 v[154:155], v[221:222], s[18:19]
	v_mul_f64 v[221:222], v[249:250], s[20:21]
	v_fma_f64 v[229:230], v[231:232], s[24:25], v[187:188]
	v_add_f64 v[191:192], v[140:141], v[191:192]
	v_fma_f64 v[233:234], v[247:248], s[46:47], v[207:208]
	v_fma_f64 v[207:208], v[247:248], s[20:21], v[207:208]
	v_add_f64 v[152:153], v[152:153], v[172:173]
	v_fma_f64 v[174:175], v[199:200], s[36:37], v[18:19]
	v_fma_f64 v[28:29], v[203:204], s[28:29], -v[28:29]
	v_mul_f64 v[172:173], v[201:202], s[44:45]
	v_fma_f64 v[201:202], v[245:246], s[4:5], v[221:222]
	v_add_f64 v[191:192], v[229:230], v[191:192]
	v_fma_f64 v[18:19], v[199:200], s[44:45], v[18:19]
	v_mov_b32_e32 v230, v240
	v_add_f64 v[152:153], v[207:208], v[152:153]
	v_mov_b32_e32 v240, v21
	v_mov_b32_e32 v229, v239
	;; [unrolled: 1-line block ×3, first 2 shown]
	v_fma_f64 v[187:188], v[231:232], s[24:25], -v[187:188]
	v_add_f64 v[28:29], v[140:141], v[28:29]
	v_add_f64 v[191:192], v[201:202], v[191:192]
	v_fma_f64 v[201:202], v[219:220], s[38:39], v[154:155]
	v_add_f64 v[18:19], v[18:19], v[152:153]
	buffer_load_dword v20, off, s[52:55], 0 offset:184 ; 4-byte Folded Reload
	buffer_load_dword v21, off, s[52:55], 0 offset:188 ; 4-byte Folded Reload
	v_add_f64 v[24:25], v[142:143], v[24:25]
	v_fma_f64 v[199:200], v[253:254], s[30:31], v[172:173]
	v_fma_f64 v[203:204], v[245:246], s[4:5], -v[221:222]
	v_add_f64 v[28:29], v[187:188], v[28:29]
	v_fma_f64 v[187:188], v[219:220], s[22:23], v[154:155]
	v_fma_f64 v[172:173], v[253:254], s[30:31], -v[172:173]
	v_add_f64 v[154:155], v[201:202], v[18:19]
	buffer_load_dword v18, off, s[52:55], 0 offset:216 ; 4-byte Folded Reload
	buffer_load_dword v19, off, s[52:55], 0 offset:220 ; 4-byte Folded Reload
	v_add_f64 v[24:25], v[211:212], v[24:25]
	v_mul_f64 v[185:186], v[217:218], s[28:29]
	v_add_f64 v[168:169], v[168:169], v[193:194]
	v_add_f64 v[28:29], v[203:204], v[28:29]
	;; [unrolled: 1-line block ×5, first 2 shown]
	v_fma_f64 v[174:175], v[217:218], s[18:19], v[170:171]
	s_waitcnt vmcnt(2)
	v_add_f64 v[152:153], v[20:21], v[181:182]
	v_add_f64 v[181:182], v[199:200], v[191:192]
	;; [unrolled: 1-line block ×3, first 2 shown]
	s_waitcnt vmcnt(0)
	v_add_f64 v[4:5], v[18:19], v[4:5]
	v_add_f64 v[18:19], v[142:143], v[152:153]
	v_fma_f64 v[152:153], v[217:218], s[18:19], -v[170:171]
	v_add_f64 v[170:171], v[0:1], v[176:177]
	buffer_load_dword v0, off, s[52:55], 0 offset:224 ; 4-byte Folded Reload
	buffer_load_dword v1, off, s[52:55], 0 offset:228 ; 4-byte Folded Reload
	v_add_f64 v[176:177], v[142:143], v[14:15]
	v_add_f64 v[4:5], v[4:5], v[18:19]
	;; [unrolled: 1-line block ×6, first 2 shown]
	s_waitcnt vmcnt(0)
	v_add_f64 v[12:13], v[0:1], v[2:3]
	buffer_load_dword v0, off, s[52:55], 0 offset:448 ; 4-byte Folded Reload
	buffer_load_dword v1, off, s[52:55], 0 offset:452 ; 4-byte Folded Reload
	v_add_f64 v[4:5], v[12:13], v[4:5]
	v_add_f64 v[12:13], v[170:171], v[6:7]
	;; [unrolled: 1-line block ×3, first 2 shown]
	v_add_f64 v[16:17], v[185:186], -v[166:167]
	s_waitcnt vmcnt(0)
	v_add_f64 v[172:173], v[0:1], -v[189:190]
	buffer_load_dword v0, off, s[52:55], 0 offset:472 ; 4-byte Folded Reload
	buffer_load_dword v1, off, s[52:55], 0 offset:476 ; 4-byte Folded Reload
	;; [unrolled: 1-line block ×6, first 2 shown]
	v_add_f64 v[156:157], v[140:141], v[172:173]
	s_waitcnt vmcnt(4)
	v_add_f64 v[0:1], v[241:242], v[0:1]
	s_waitcnt vmcnt(0)
	v_add_f64 v[2:3], v[8:9], -v[2:3]
	buffer_load_dword v8, off, s[52:55], 0 offset:200 ; 4-byte Folded Reload
	buffer_load_dword v9, off, s[52:55], 0 offset:204 ; 4-byte Folded Reload
	;; [unrolled: 1-line block ×6, first 2 shown]
	v_add_f64 v[0:1], v[0:1], v[18:19]
	v_add_f64 v[2:3], v[2:3], v[156:157]
	s_waitcnt vmcnt(2)
	v_add_f64 v[8:9], v[8:9], v[10:11]
	s_waitcnt vmcnt(0)
	v_add_f64 v[18:19], v[176:177], v[6:7]
	buffer_load_dword v6, off, s[52:55], 0 offset:208 ; 4-byte Folded Reload
	buffer_load_dword v7, off, s[52:55], 0 offset:212 ; 4-byte Folded Reload
	buffer_load_dword v10, off, s[52:55], 0 offset:424 ; 4-byte Folded Reload
	buffer_load_dword v11, off, s[52:55], 0 offset:428 ; 4-byte Folded Reload
	v_add_f64 v[0:1], v[8:9], v[0:1]
	s_waitcnt vmcnt(0)
	v_add_f64 v[10:11], v[10:11], -v[6:7]
	buffer_load_dword v6, off, s[52:55], 0 offset:440 ; 4-byte Folded Reload
	buffer_load_dword v7, off, s[52:55], 0 offset:444 ; 4-byte Folded Reload
	;; [unrolled: 1-line block ×4, first 2 shown]
	v_add_f64 v[2:3], v[10:11], v[2:3]
	s_waitcnt vmcnt(2)
	v_add_f64 v[6:7], v[209:210], v[6:7]
	s_waitcnt vmcnt(0)
	v_add_f64 v[8:9], v[12:13], v[8:9]
	buffer_load_dword v12, off, s[52:55], 0 offset:368 ; 4-byte Folded Reload
	buffer_load_dword v13, off, s[52:55], 0 offset:372 ; 4-byte Folded Reload
	;; [unrolled: 1-line block ×6, first 2 shown]
	v_add_f64 v[0:1], v[6:7], v[0:1]
	v_add_f64 v[6:7], v[8:9], v[178:179]
	s_waitcnt vmcnt(4)
	v_add_f64 v[12:13], v[18:19], v[12:13]
	buffer_load_dword v18, off, s[52:55], 0 offset:328 ; 4-byte Folded Reload
	buffer_load_dword v19, off, s[52:55], 0 offset:332 ; 4-byte Folded Reload
	;; [unrolled: 1-line block ×4, first 2 shown]
	s_waitcnt vmcnt(4)
	v_add_f64 v[10:11], v[164:165], v[10:11]
	v_add_f64 v[14:15], v[14:15], -v[213:214]
	v_add_f64 v[213:214], v[26:27], v[30:31]
	v_add_f64 v[8:9], v[12:13], v[183:184]
	buffer_load_dword v12, off, s[52:55], 0 offset:264 ; 4-byte Folded Reload
	buffer_load_dword v13, off, s[52:55], 0 offset:268 ; 4-byte Folded Reload
	v_add_f64 v[2:3], v[14:15], v[2:3]
	s_waitcnt vmcnt(2)
	v_add_f64 v[18:19], v[20:21], v[18:19]
	buffer_load_dword v20, off, s[52:55], 0 offset:280 ; 4-byte Folded Reload
	buffer_load_dword v21, off, s[52:55], 0 offset:284 ; 4-byte Folded Reload
	;; [unrolled: 1-line block ×4, first 2 shown]
	v_add_f64 v[18:19], v[142:143], v[18:19]
	s_waitcnt vmcnt(4)
	v_add_f64 v[12:13], v[12:13], -v[243:244]
	v_add_f64 v[12:13], v[140:141], v[12:13]
	s_waitcnt vmcnt(0)
	v_add_f64 v[156:157], v[20:21], -v[156:157]
	buffer_load_dword v20, off, s[52:55], 0 offset:336 ; 4-byte Folded Reload
	buffer_load_dword v21, off, s[52:55], 0 offset:340 ; 4-byte Folded Reload
	v_add_f64 v[140:141], v[140:141], v[156:157]
	s_waitcnt vmcnt(0)
	v_add_f64 v[164:165], v[20:21], -v[22:23]
	buffer_load_dword v20, off, s[52:55], 0 offset:312 ; 4-byte Folded Reload
	buffer_load_dword v21, off, s[52:55], 0 offset:316 ; 4-byte Folded Reload
	;; [unrolled: 1-line block ×4, first 2 shown]
	v_add_f64 v[140:141], v[164:165], v[140:141]
	s_waitcnt vmcnt(0)
	v_add_f64 v[166:167], v[22:23], v[20:21]
	buffer_load_dword v20, off, s[52:55], 0 offset:288 ; 4-byte Folded Reload
	buffer_load_dword v21, off, s[52:55], 0 offset:292 ; 4-byte Folded Reload
	;; [unrolled: 1-line block ×4, first 2 shown]
	v_add_f64 v[18:19], v[166:167], v[18:19]
	s_waitcnt vmcnt(0)
	v_add_f64 v[142:143], v[20:21], -v[22:23]
	buffer_load_dword v20, off, s[52:55], 0 offset:528 ; 4-byte Folded Reload
	buffer_load_dword v21, off, s[52:55], 0 offset:532 ; 4-byte Folded Reload
	v_add_f64 v[12:13], v[142:143], v[12:13]
	s_waitcnt vmcnt(0)
	v_add_f64 v[6:7], v[6:7], v[20:21]
	buffer_load_dword v20, off, s[52:55], 0 offset:520 ; 4-byte Folded Reload
	buffer_load_dword v21, off, s[52:55], 0 offset:524 ; 4-byte Folded Reload
	s_waitcnt vmcnt(0)
	v_add_f64 v[8:9], v[8:9], v[20:21]
	buffer_load_dword v20, off, s[52:55], 0 offset:176 ; 4-byte Folded Reload
	buffer_load_dword v21, off, s[52:55], 0 offset:180 ; 4-byte Folded Reload
	;; [unrolled: 1-line block ×4, first 2 shown]
	s_waitcnt vmcnt(0)
	v_add_f64 v[156:157], v[22:23], -v[20:21]
	buffer_load_dword v20, off, s[52:55], 0 offset:168 ; 4-byte Folded Reload
	buffer_load_dword v21, off, s[52:55], 0 offset:172 ; 4-byte Folded Reload
	;; [unrolled: 1-line block ×4, first 2 shown]
	v_add_f64 v[140:141], v[156:157], v[140:141]
	s_waitcnt vmcnt(0)
	v_add_f64 v[170:171], v[20:21], v[22:23]
	buffer_load_dword v20, off, s[52:55], 0 offset:248 ; 4-byte Folded Reload
	buffer_load_dword v21, off, s[52:55], 0 offset:252 ; 4-byte Folded Reload
	buffer_load_dword v22, off, s[52:55], 0 offset:544 ; 4-byte Folded Reload
	buffer_load_dword v23, off, s[52:55], 0 offset:548 ; 4-byte Folded Reload
	v_add_f64 v[18:19], v[170:171], v[18:19]
	s_waitcnt vmcnt(0)
	v_add_f64 v[166:167], v[20:21], -v[22:23]
	buffer_load_dword v20, off, s[52:55], 0 offset:488 ; 4-byte Folded Reload
	buffer_load_dword v21, off, s[52:55], 0 offset:492 ; 4-byte Folded Reload
	v_add_f64 v[12:13], v[166:167], v[12:13]
	s_waitcnt vmcnt(0)
	v_add_f64 v[6:7], v[6:7], v[20:21]
	buffer_load_dword v20, off, s[52:55], 0 offset:480 ; 4-byte Folded Reload
	buffer_load_dword v21, off, s[52:55], 0 offset:484 ; 4-byte Folded Reload
	s_waitcnt vmcnt(0)
	v_add_f64 v[8:9], v[8:9], v[20:21]
	buffer_load_dword v20, off, s[52:55], 0 offset:304 ; 4-byte Folded Reload
	buffer_load_dword v21, off, s[52:55], 0 offset:308 ; 4-byte Folded Reload
	s_waitcnt vmcnt(0)
	v_add_f64 v[142:143], v[20:21], -v[205:206]
	buffer_load_dword v20, off, s[52:55], 0 offset:272 ; 4-byte Folded Reload
	buffer_load_dword v21, off, s[52:55], 0 offset:276 ; 4-byte Folded Reload
	v_add_f64 v[140:141], v[142:143], v[140:141]
	v_add_f64 v[142:143], v[168:169], v[4:5]
	;; [unrolled: 1-line block ×3, first 2 shown]
	s_waitcnt vmcnt(0)
	v_add_f64 v[164:165], v[197:198], v[20:21]
	buffer_load_dword v20, off, s[52:55], 0 offset:240 ; 4-byte Folded Reload
	buffer_load_dword v21, off, s[52:55], 0 offset:244 ; 4-byte Folded Reload
	v_add_f64 v[18:19], v[164:165], v[18:19]
	s_waitcnt vmcnt(0)
	v_add_f64 v[170:171], v[20:21], -v[195:196]
	buffer_load_dword v20, off, s[52:55], 0 offset:384 ; 4-byte Folded Reload
	buffer_load_dword v21, off, s[52:55], 0 offset:388 ; 4-byte Folded Reload
	v_add_f64 v[12:13], v[170:171], v[12:13]
	v_add_f64 v[170:171], v[187:188], v[24:25]
	s_waitcnt vmcnt(0)
	v_add_f64 v[6:7], v[6:7], v[20:21]
	buffer_load_dword v20, off, s[52:55], 0 offset:256 ; 4-byte Folded Reload
	buffer_load_dword v21, off, s[52:55], 0 offset:260 ; 4-byte Folded Reload
	s_waitcnt vmcnt(0)
	v_add_f64 v[8:9], v[8:9], v[20:21]
	buffer_load_dword v20, off, s[52:55], 0 offset:376 ; 4-byte Folded Reload
	buffer_load_dword v21, off, s[52:55], 0 offset:380 ; 4-byte Folded Reload
	s_waitcnt vmcnt(0)
	v_add_f64 v[156:157], v[20:21], -v[162:163]
	buffer_load_dword v20, off, s[52:55], 0 offset:360 ; 4-byte Folded Reload
	buffer_load_dword v21, off, s[52:55], 0 offset:364 ; 4-byte Folded Reload
	v_add_f64 v[156:157], v[156:157], v[140:141]
	v_add_f64 v[140:141], v[16:17], v[2:3]
	s_waitcnt vmcnt(0)
	v_add_f64 v[22:23], v[160:161], v[20:21]
	buffer_load_dword v20, off, s[52:55], 0 offset:352 ; 4-byte Folded Reload
	buffer_load_dword v21, off, s[52:55], 0 offset:356 ; 4-byte Folded Reload
	v_add_f64 v[162:163], v[22:23], v[18:19]
	s_waitcnt vmcnt(0)
	v_add_f64 v[20:21], v[20:21], -v[158:159]
	buffer_load_dword v158, off, s[52:55], 0 offset:232 ; 4-byte Folded Reload
	buffer_load_dword v159, off, s[52:55], 0 offset:236 ; 4-byte Folded Reload
	v_add_f64 v[160:161], v[20:21], v[12:13]
	s_waitcnt vmcnt(0)
	v_add_f64 v[6:7], v[6:7], v[158:159]
	buffer_load_dword v158, off, s[52:55], 0 offset:464 ; 4-byte Folded Reload
	buffer_load_dword v159, off, s[52:55], 0 offset:468 ; 4-byte Folded Reload
	s_waitcnt vmcnt(0)
	v_add_f64 v[8:9], v[8:9], v[158:159]
	v_add_f64 v[158:159], v[10:11], v[0:1]
	buffer_load_dword v0, off, s[52:55], 0 offset:504 ; 4-byte Folded Reload
	buffer_load_dword v1, off, s[52:55], 0 offset:508 ; 4-byte Folded Reload
	s_waitcnt vmcnt(0)
	v_add_f64 v[166:167], v[6:7], v[0:1]
	buffer_load_dword v0, off, s[52:55], 0 offset:408 ; 4-byte Folded Reload
	buffer_load_dword v1, off, s[52:55], 0 offset:412 ; 4-byte Folded Reload
	s_waitcnt vmcnt(0)
	v_add_f64 v[164:165], v[8:9], v[0:1]
	ds_write_b128 v255, v[164:167]
	ds_write_b128 v255, v[160:163] offset:1440
	ds_write_b128 v255, v[156:159] offset:2880
	;; [unrolled: 1-line block ×10, first 2 shown]
.LBB0_15:
	s_or_b64 exec, exec, s[40:41]
	v_mov_b32_e32 v0, s17
	v_addc_co_u32_e64 v1, vcc, 0, v0, s[8:9]
	s_movk_i32 s4, 0x3de0
	v_add_co_u32_e32 v140, vcc, s4, v223
	s_movk_i32 s4, 0x5000
	v_add_co_u32_e64 v2, s[4:5], s4, v223
	v_addc_co_u32_e64 v3, s[4:5], 0, v1, s[4:5]
	s_movk_i32 s4, 0x6000
	v_add_co_u32_e64 v4, s[4:5], s4, v223
	s_waitcnt vmcnt(0) lgkmcnt(0)
	s_barrier
	v_addc_co_u32_e32 v141, vcc, 0, v1, vcc
	v_addc_co_u32_e64 v5, s[4:5], 0, v1, s[4:5]
	global_load_dwordx4 v[152:155], v[2:3], off offset:3280
	global_load_dwordx4 v[156:159], v[4:5], off offset:944
	;; [unrolled: 1-line block ×4, first 2 shown]
	s_movk_i32 s8, 0x3000
	s_movk_i32 s4, 0x7000
	v_add_co_u32_e32 v0, vcc, s8, v223
	v_add_co_u32_e64 v6, s[4:5], s4, v223
	v_addc_co_u32_e64 v7, s[4:5], 0, v1, s[4:5]
	global_load_dwordx4 v[168:171], v[4:5], off offset:2704
	global_load_dwordx4 v[172:175], v[6:7], off offset:368
	v_addc_co_u32_e32 v1, vcc, 0, v1, vcc
	global_load_dwordx4 v[176:179], v[0:1], off offset:3552
	global_load_dwordx4 v[181:184], v[2:3], off offset:640
	ds_read_b128 v[185:188], v255
	ds_read_b128 v[189:192], v255 offset:1760
	ds_read_b128 v[193:196], v255 offset:7920
	;; [unrolled: 1-line block ×7, first 2 shown]
	s_waitcnt vmcnt(7) lgkmcnt(5)
	v_mul_f64 v[0:1], v[195:196], v[154:155]
	v_mul_f64 v[2:3], v[193:194], v[154:155]
	s_waitcnt vmcnt(5)
	v_mul_f64 v[4:5], v[191:192], v[162:163]
	v_mul_f64 v[6:7], v[189:190], v[162:163]
	s_waitcnt lgkmcnt(4)
	v_mul_f64 v[8:9], v[199:200], v[158:159]
	v_mul_f64 v[10:11], v[197:198], v[158:159]
	s_waitcnt vmcnt(4) lgkmcnt(3)
	v_mul_f64 v[12:13], v[203:204], v[166:167]
	v_mul_f64 v[14:15], v[201:202], v[166:167]
	v_fma_f64 v[193:194], v[193:194], v[152:153], -v[0:1]
	v_fma_f64 v[195:196], v[195:196], v[152:153], v[2:3]
	v_fma_f64 v[152:153], v[189:190], v[160:161], -v[4:5]
	s_waitcnt vmcnt(3) lgkmcnt(1)
	v_mul_f64 v[16:17], v[211:212], v[170:171]
	v_mul_f64 v[18:19], v[209:210], v[170:171]
	s_waitcnt vmcnt(2) lgkmcnt(0)
	v_mul_f64 v[20:21], v[215:216], v[174:175]
	s_waitcnt vmcnt(1)
	v_mul_f64 v[24:25], v[187:188], v[178:179]
	v_mul_f64 v[26:27], v[185:186], v[178:179]
	s_waitcnt vmcnt(0)
	v_mul_f64 v[28:29], v[207:208], v[183:184]
	v_mul_f64 v[30:31], v[205:206], v[183:184]
	;; [unrolled: 1-line block ×3, first 2 shown]
	v_fma_f64 v[154:155], v[191:192], v[160:161], v[6:7]
	v_fma_f64 v[158:159], v[197:198], v[156:157], -v[8:9]
	v_fma_f64 v[160:161], v[199:200], v[156:157], v[10:11]
	v_fma_f64 v[162:163], v[201:202], v[164:165], -v[12:13]
	;; [unrolled: 2-line block ×6, first 2 shown]
	v_fma_f64 v[172:173], v[215:216], v[172:173], v[22:23]
	ds_write_b128 v255, v[193:196] offset:7920
	ds_write_b128 v255, v[152:155] offset:1760
	;; [unrolled: 1-line block ×5, first 2 shown]
	ds_write_b128 v255, v[174:177]
	ds_write_b128 v255, v[183:186] offset:5280
	ds_write_b128 v255, v[170:173] offset:13200
	s_and_saveexec_b64 s[4:5], s[0:1]
	s_cbranch_execz .LBB0_17
; %bb.16:
	v_add_co_u32_e32 v0, vcc, 0x1000, v140
	v_addc_co_u32_e32 v1, vcc, 0, v141, vcc
	global_load_dwordx4 v[152:155], v[0:1], off offset:2944
	v_add_co_u32_e32 v0, vcc, s8, v140
	v_addc_co_u32_e32 v1, vcc, 0, v141, vcc
	global_load_dwordx4 v[140:143], v[0:1], off offset:2672
	ds_read_b128 v[156:159], v255 offset:7040
	ds_read_b128 v[160:163], v255 offset:14960
	s_waitcnt vmcnt(1) lgkmcnt(1)
	v_mul_f64 v[0:1], v[158:159], v[154:155]
	v_mul_f64 v[2:3], v[156:157], v[154:155]
	s_waitcnt vmcnt(0) lgkmcnt(0)
	v_mul_f64 v[4:5], v[162:163], v[142:143]
	v_mul_f64 v[6:7], v[160:161], v[142:143]
	v_fma_f64 v[154:155], v[156:157], v[152:153], -v[0:1]
	v_fma_f64 v[156:157], v[158:159], v[152:153], v[2:3]
	v_fma_f64 v[158:159], v[160:161], v[140:141], -v[4:5]
	v_fma_f64 v[160:161], v[162:163], v[140:141], v[6:7]
	ds_write_b128 v255, v[154:157] offset:7040
	ds_write_b128 v255, v[158:161] offset:14960
.LBB0_17:
	s_or_b64 exec, exec, s[4:5]
	s_waitcnt lgkmcnt(0)
	s_barrier
	ds_read_b128 v[152:155], v255
	ds_read_b128 v[156:159], v255 offset:1760
	ds_read_b128 v[176:179], v255 offset:7920
	;; [unrolled: 1-line block ×7, first 2 shown]
	v_lshlrev_b32_e32 v0, 5, v180
	v_add_u32_e32 v181, 0x2940, v0
	s_and_saveexec_b64 s[4:5], s[0:1]
	s_cbranch_execz .LBB0_19
; %bb.18:
	ds_read_b128 v[144:147], v255 offset:7040
	ds_read_b128 v[148:151], v255 offset:14960
.LBB0_19:
	s_or_b64 exec, exec, s[4:5]
	s_waitcnt lgkmcnt(0)
	s_barrier
	buffer_load_dword v0, off, s[52:55], 0 offset:132 ; 4-byte Folded Reload
	v_add_f64 v[176:177], v[152:153], -v[176:177]
	v_add_f64 v[178:179], v[154:155], -v[178:179]
	;; [unrolled: 1-line block ×8, first 2 shown]
	v_fma_f64 v[152:153], v[152:153], 2.0, -v[176:177]
	v_fma_f64 v[154:155], v[154:155], 2.0, -v[178:179]
	;; [unrolled: 1-line block ×8, first 2 shown]
	v_add_f64 v[140:141], v[144:145], -v[148:149]
	v_add_f64 v[142:143], v[146:147], -v[150:151]
	s_waitcnt vmcnt(0)
	ds_write_b128 v0, v[152:155]
	ds_write_b128 v0, v[176:179] offset:16
	buffer_load_dword v0, off, s[52:55], 0 offset:136 ; 4-byte Folded Reload
	s_waitcnt vmcnt(0)
	ds_write_b128 v0, v[156:159]
	ds_write_b128 v0, v[172:175] offset:16
	buffer_load_dword v0, off, s[52:55], 0 offset:140 ; 4-byte Folded Reload
	s_waitcnt vmcnt(0)
	ds_write_b128 v0, v[160:163]
	ds_write_b128 v0, v[168:171] offset:16
	ds_write_b128 v181, v[182:185]
	ds_write_b128 v181, v[164:167] offset:16
	s_and_saveexec_b64 s[4:5], s[0:1]
	s_cbranch_execz .LBB0_21
; %bb.20:
	buffer_load_dword v0, off, s[52:55], 0 offset:128 ; 4-byte Folded Reload
	v_fma_f64 v[146:147], v[146:147], 2.0, -v[142:143]
	v_fma_f64 v[144:145], v[144:145], 2.0, -v[140:141]
	s_waitcnt vmcnt(0)
	ds_write_b128 v0, v[144:147]
	ds_write_b128 v0, v[140:143] offset:16
.LBB0_21:
	s_or_b64 exec, exec, s[4:5]
	s_waitcnt lgkmcnt(0)
	s_barrier
	ds_read_b128 v[144:147], v255 offset:5280
	ds_read_b128 v[148:151], v255
	ds_read_b128 v[152:155], v255 offset:1760
	ds_read_b128 v[156:159], v255 offset:10560
	;; [unrolled: 1-line block ×4, first 2 shown]
	s_waitcnt lgkmcnt(5)
	v_mul_f64 v[2:3], v[38:39], v[144:145]
	v_mul_f64 v[0:1], v[38:39], v[146:147]
	s_waitcnt lgkmcnt(2)
	v_mul_f64 v[6:7], v[34:35], v[156:157]
	v_mul_f64 v[4:5], v[34:35], v[158:159]
	ds_read_b128 v[168:171], v255 offset:7040
	ds_read_b128 v[172:175], v255 offset:8800
	;; [unrolled: 1-line block ×3, first 2 shown]
	s_waitcnt lgkmcnt(4)
	v_mul_f64 v[12:13], v[34:35], v[162:163]
	v_fma_f64 v[2:3], v[36:37], v[146:147], -v[2:3]
	s_waitcnt lgkmcnt(2)
	v_mul_f64 v[8:9], v[38:39], v[170:171]
	v_fma_f64 v[6:7], v[32:33], v[158:159], -v[6:7]
	v_fma_f64 v[0:1], v[36:37], v[144:145], v[0:1]
	v_fma_f64 v[4:5], v[32:33], v[156:157], v[4:5]
	s_waitcnt lgkmcnt(1)
	v_mul_f64 v[16:17], v[38:39], v[174:175]
	s_waitcnt lgkmcnt(0)
	v_mul_f64 v[22:23], v[34:35], v[178:179]
	v_mul_f64 v[14:15], v[34:35], v[160:161]
	;; [unrolled: 1-line block ×3, first 2 shown]
	v_fma_f64 v[8:9], v[36:37], v[168:169], v[8:9]
	v_add_f64 v[30:31], v[2:3], v[6:7]
	v_mul_f64 v[24:25], v[34:35], v[176:177]
	v_add_f64 v[20:21], v[0:1], v[4:5]
	v_add_f64 v[26:27], v[148:149], v[0:1]
	v_fma_f64 v[16:17], v[36:37], v[172:173], v[16:17]
	v_fma_f64 v[22:23], v[32:33], v[176:177], v[22:23]
	v_add_f64 v[0:1], v[0:1], -v[4:5]
	s_mov_b32 s4, 0xe8584caa
	v_fma_f64 v[30:31], v[30:31], -0.5, v[150:151]
	s_mov_b32 s5, 0xbfebb67a
	s_mov_b32 s9, 0x3febb67a
	;; [unrolled: 1-line block ×3, first 2 shown]
	v_mul_f64 v[10:11], v[38:39], v[168:169]
	v_fma_f64 v[12:13], v[32:33], v[160:161], v[12:13]
	v_fma_f64 v[14:15], v[32:33], v[162:163], -v[14:15]
	v_fma_f64 v[18:19], v[36:37], v[174:175], -v[18:19]
	;; [unrolled: 1-line block ×3, first 2 shown]
	v_add_f64 v[32:33], v[26:27], v[4:5]
	v_add_f64 v[4:5], v[152:153], v[8:9]
	v_fma_f64 v[38:39], v[0:1], s[8:9], v[30:31]
	v_fma_f64 v[146:147], v[0:1], s[4:5], v[30:31]
	v_add_f64 v[0:1], v[16:17], v[22:23]
	v_fma_f64 v[10:11], v[36:37], v[170:171], -v[10:11]
	v_fma_f64 v[20:21], v[20:21], -0.5, v[148:149]
	v_add_f64 v[28:29], v[2:3], -v[6:7]
	v_add_f64 v[26:27], v[8:9], v[12:13]
	v_add_f64 v[2:3], v[150:151], v[2:3]
	;; [unrolled: 1-line block ×3, first 2 shown]
	v_add_f64 v[8:9], v[8:9], -v[12:13]
	v_fma_f64 v[0:1], v[0:1], -0.5, v[164:165]
	v_add_f64 v[12:13], v[18:19], -v[24:25]
	v_add_f64 v[150:151], v[10:11], -v[14:15]
	s_barrier
	v_add_f64 v[34:35], v[2:3], v[6:7]
	v_add_f64 v[2:3], v[10:11], v[14:15]
	;; [unrolled: 1-line block ×4, first 2 shown]
	v_fma_f64 v[164:165], v[12:13], s[4:5], v[0:1]
	v_fma_f64 v[168:169], v[12:13], s[8:9], v[0:1]
	buffer_load_dword v0, off, s[52:55], 0 offset:164 ; 4-byte Folded Reload
	v_fma_f64 v[36:37], v[28:29], s[4:5], v[20:21]
	v_fma_f64 v[144:145], v[28:29], s[8:9], v[20:21]
	v_fma_f64 v[26:27], v[26:27], -0.5, v[152:153]
	v_fma_f64 v[2:3], v[2:3], -0.5, v[154:155]
	v_add_f64 v[4:5], v[18:19], v[24:25]
	v_add_f64 v[18:19], v[166:167], v[18:19]
	v_add_f64 v[16:17], v[16:17], -v[22:23]
	v_add_f64 v[160:161], v[10:11], v[22:23]
	s_waitcnt vmcnt(0)
	ds_write_b128 v0, v[32:35]
	ds_write_b128 v0, v[36:39] offset:32
	ds_write_b128 v0, v[144:147] offset:64
	buffer_load_dword v0, off, s[52:55], 0 offset:156 ; 4-byte Folded Reload
	v_fma_f64 v[152:153], v[150:151], s[4:5], v[26:27]
	v_fma_f64 v[156:157], v[150:151], s[8:9], v[26:27]
	v_add_f64 v[150:151], v[6:7], v[14:15]
	v_fma_f64 v[154:155], v[8:9], s[8:9], v[2:3]
	v_fma_f64 v[158:159], v[8:9], s[4:5], v[2:3]
	v_fma_f64 v[4:5], v[4:5], -0.5, v[166:167]
	v_add_f64 v[162:163], v[18:19], v[24:25]
	s_waitcnt vmcnt(0)
	ds_write_b128 v0, v[148:151]
	ds_write_b128 v0, v[152:155] offset:32
	ds_write_b128 v0, v[156:159] offset:64
	buffer_load_dword v0, off, s[52:55], 0 offset:148 ; 4-byte Folded Reload
	v_fma_f64 v[166:167], v[16:17], s[8:9], v[4:5]
	v_fma_f64 v[170:171], v[16:17], s[4:5], v[4:5]
	s_waitcnt vmcnt(0)
	ds_write_b128 v0, v[160:163]
	ds_write_b128 v0, v[164:167] offset:32
	ds_write_b128 v0, v[168:171] offset:64
	s_waitcnt lgkmcnt(0)
	s_barrier
	ds_read_b128 v[32:35], v255 offset:5280
	ds_read_b128 v[36:39], v255
	ds_read_b128 v[144:147], v255 offset:1760
	ds_read_b128 v[148:151], v255 offset:3520
	;; [unrolled: 1-line block ×4, first 2 shown]
	s_waitcnt lgkmcnt(5)
	v_mul_f64 v[2:3], v[58:59], v[32:33]
	v_mul_f64 v[0:1], v[58:59], v[34:35]
	ds_read_b128 v[160:163], v255 offset:7040
	ds_read_b128 v[164:167], v255 offset:8800
	s_waitcnt lgkmcnt(3)
	v_mul_f64 v[6:7], v[46:47], v[152:153]
	v_mul_f64 v[4:5], v[46:47], v[154:155]
	ds_read_b128 v[168:171], v255 offset:14080
	s_waitcnt lgkmcnt(2)
	v_mul_f64 v[8:9], v[54:55], v[162:163]
	v_mul_f64 v[12:13], v[42:43], v[158:159]
	v_fma_f64 v[2:3], v[56:57], v[34:35], -v[2:3]
	v_fma_f64 v[0:1], v[56:57], v[32:33], v[0:1]
	s_waitcnt lgkmcnt(1)
	v_mul_f64 v[16:17], v[62:63], v[166:167]
	v_fma_f64 v[6:7], v[44:45], v[154:155], -v[6:7]
	v_fma_f64 v[4:5], v[44:45], v[152:153], v[4:5]
	s_waitcnt lgkmcnt(0)
	v_mul_f64 v[22:23], v[50:51], v[170:171]
	v_fma_f64 v[8:9], v[52:53], v[160:161], v[8:9]
	v_mul_f64 v[18:19], v[62:63], v[164:165]
	v_fma_f64 v[12:13], v[40:41], v[156:157], v[12:13]
	;; [unrolled: 2-line block ×3, first 2 shown]
	v_add_f64 v[26:27], v[2:3], v[6:7]
	v_add_f64 v[20:21], v[0:1], v[4:5]
	;; [unrolled: 1-line block ×3, first 2 shown]
	v_fma_f64 v[22:23], v[48:49], v[168:169], v[22:23]
	v_add_f64 v[0:1], v[0:1], -v[4:5]
	v_fma_f64 v[18:19], v[60:61], v[166:167], -v[18:19]
	v_add_f64 v[32:33], v[8:9], v[12:13]
	v_fma_f64 v[24:25], v[48:49], v[170:171], -v[24:25]
	v_fma_f64 v[26:27], v[26:27], -0.5, v[38:39]
	v_fma_f64 v[20:21], v[20:21], -0.5, v[36:37]
	v_add_f64 v[36:37], v[28:29], v[4:5]
	v_add_f64 v[4:5], v[144:145], v[8:9]
	v_add_f64 v[8:9], v[8:9], -v[12:13]
	v_fma_f64 v[28:29], v[32:33], -0.5, v[144:145]
	s_barrier
	v_fma_f64 v[56:57], v[0:1], s[8:9], v[26:27]
	v_fma_f64 v[60:61], v[0:1], s[4:5], v[26:27]
	v_add_f64 v[0:1], v[16:17], v[22:23]
	v_add_f64 v[144:145], v[4:5], v[12:13]
	v_add_f64 v[12:13], v[18:19], -v[24:25]
	v_add_f64 v[30:31], v[2:3], -v[6:7]
	v_add_f64 v[2:3], v[38:39], v[2:3]
	v_mul_f64 v[10:11], v[54:55], v[160:161]
	v_mul_f64 v[14:15], v[42:43], v[156:157]
	v_fma_f64 v[0:1], v[0:1], -0.5, v[148:149]
	v_add_f64 v[4:5], v[18:19], v[24:25]
	v_add_f64 v[18:19], v[150:151], v[18:19]
	v_fma_f64 v[54:55], v[30:31], s[4:5], v[20:21]
	v_add_f64 v[38:39], v[2:3], v[6:7]
	v_fma_f64 v[58:59], v[30:31], s[8:9], v[20:21]
	v_fma_f64 v[10:11], v[52:53], v[162:163], -v[10:11]
	v_fma_f64 v[46:47], v[12:13], s[4:5], v[0:1]
	v_fma_f64 v[50:51], v[12:13], s[8:9], v[0:1]
	buffer_load_dword v0, off, s[52:55], 0 offset:160 ; 4-byte Folded Reload
	v_fma_f64 v[14:15], v[40:41], v[158:159], -v[14:15]
	v_fma_f64 v[4:5], v[4:5], -0.5, v[150:151]
	v_add_f64 v[34:35], v[18:19], v[24:25]
	s_waitcnt vmcnt(0)
	ds_write_b128 v0, v[36:39]
	ds_write_b128 v0, v[54:57] offset:96
	ds_write_b128 v0, v[58:61] offset:192
	buffer_load_dword v0, off, s[52:55], 0 offset:152 ; 4-byte Folded Reload
	v_add_f64 v[2:3], v[10:11], v[14:15]
	v_add_f64 v[6:7], v[146:147], v[10:11]
	v_add_f64 v[32:33], v[10:11], -v[14:15]
	v_add_f64 v[10:11], v[148:149], v[16:17]
	v_add_f64 v[16:17], v[16:17], -v[22:23]
	v_fma_f64 v[2:3], v[2:3], -0.5, v[146:147]
	v_add_f64 v[146:147], v[6:7], v[14:15]
	v_fma_f64 v[152:153], v[32:33], s[4:5], v[28:29]
	v_fma_f64 v[42:43], v[32:33], s[8:9], v[28:29]
	v_add_f64 v[32:33], v[10:11], v[22:23]
	v_fma_f64 v[48:49], v[16:17], s[8:9], v[4:5]
	v_fma_f64 v[52:53], v[16:17], s[4:5], v[4:5]
	;; [unrolled: 1-line block ×4, first 2 shown]
	s_waitcnt vmcnt(0)
	ds_write_b128 v0, v[144:147]
	ds_write_b128 v0, v[152:155] offset:96
	ds_write_b128 v0, v[42:45] offset:192
	buffer_load_dword v0, off, s[52:55], 0 offset:144 ; 4-byte Folded Reload
	s_waitcnt vmcnt(0)
	ds_write_b128 v0, v[32:35]
	ds_write_b128 v0, v[46:49] offset:96
	ds_write_b128 v0, v[50:53] offset:192
	s_waitcnt lgkmcnt(0)
	s_barrier
	ds_read_b128 v[36:39], v255
	ds_read_b128 v[148:151], v255 offset:3168
	ds_read_b128 v[144:147], v255 offset:6336
	;; [unrolled: 1-line block ×4, first 2 shown]
	s_and_saveexec_b64 s[4:5], s[2:3]
	s_cbranch_execz .LBB0_23
; %bb.22:
	ds_read_b128 v[42:45], v255 offset:1760
	ds_read_b128 v[32:35], v255 offset:4928
	;; [unrolled: 1-line block ×5, first 2 shown]
.LBB0_23:
	s_or_b64 exec, exec, s[4:5]
	s_waitcnt lgkmcnt(3)
	v_mul_f64 v[0:1], v[90:91], v[150:151]
	s_waitcnt lgkmcnt(2)
	v_mul_f64 v[4:5], v[78:79], v[146:147]
	;; [unrolled: 2-line block ×3, first 2 shown]
	v_mul_f64 v[2:3], v[90:91], v[148:149]
	s_waitcnt lgkmcnt(0)
	v_mul_f64 v[12:13], v[74:75], v[56:57]
	v_mul_f64 v[14:15], v[74:75], v[54:55]
	;; [unrolled: 1-line block ×4, first 2 shown]
	v_fma_f64 v[0:1], v[88:89], v[148:149], v[0:1]
	v_fma_f64 v[4:5], v[76:77], v[144:145], v[4:5]
	;; [unrolled: 1-line block ×3, first 2 shown]
	v_fma_f64 v[2:3], v[88:89], v[150:151], -v[2:3]
	v_fma_f64 v[12:13], v[72:73], v[54:55], v[12:13]
	v_fma_f64 v[14:15], v[72:73], v[56:57], -v[14:15]
	v_mul_f64 v[18:19], v[102:103], v[32:33]
	v_fma_f64 v[6:7], v[76:77], v[146:147], -v[6:7]
	v_add_f64 v[22:23], v[36:37], v[0:1]
	v_fma_f64 v[10:11], v[80:81], v[60:61], -v[10:11]
	v_add_f64 v[26:27], v[4:5], v[8:9]
	v_mul_f64 v[16:17], v[102:103], v[34:35]
	v_mul_f64 v[20:21], v[98:99], v[48:49]
	;; [unrolled: 1-line block ×5, first 2 shown]
	v_fma_f64 v[18:19], v[100:101], v[34:35], -v[18:19]
	v_add_f64 v[22:23], v[22:23], v[4:5]
	v_fma_f64 v[26:27], v[26:27], -0.5, v[36:37]
	v_add_f64 v[34:35], v[2:3], -v[14:15]
	v_add_f64 v[54:55], v[0:1], v[12:13]
	s_mov_b32 s4, 0x134454ff
	s_mov_b32 s5, 0xbfee6f0e
	s_mov_b32 s21, 0x3fee6f0e
	s_mov_b32 s20, s4
	v_fma_f64 v[16:17], v[100:101], v[32:33], v[16:17]
	v_fma_f64 v[20:21], v[96:97], v[46:47], v[20:21]
	v_fma_f64 v[24:25], v[96:97], v[48:49], -v[24:25]
	v_fma_f64 v[28:29], v[92:93], v[50:51], v[28:29]
	v_fma_f64 v[30:31], v[92:93], v[52:53], -v[30:31]
	v_mul_f64 v[32:33], v[70:71], v[142:143]
	v_mul_f64 v[40:41], v[70:71], v[140:141]
	v_add_f64 v[22:23], v[22:23], v[8:9]
	v_fma_f64 v[46:47], v[34:35], s[4:5], v[26:27]
	v_add_f64 v[48:49], v[6:7], -v[10:11]
	v_add_f64 v[50:51], v[0:1], -v[4:5]
	;; [unrolled: 1-line block ×3, first 2 shown]
	v_fma_f64 v[36:37], v[54:55], -0.5, v[36:37]
	v_fma_f64 v[26:27], v[34:35], s[20:21], v[26:27]
	s_mov_b32 s16, 0x4755a5e
	s_mov_b32 s17, 0xbfe2cf23
	;; [unrolled: 1-line block ×4, first 2 shown]
	v_fma_f64 v[56:57], v[68:69], v[140:141], v[32:33]
	v_fma_f64 v[60:61], v[68:69], v[142:143], -v[40:41]
	v_add_f64 v[32:33], v[22:23], v[12:13]
	v_fma_f64 v[22:23], v[48:49], s[16:17], v[46:47]
	v_add_f64 v[40:41], v[50:51], v[52:53]
	v_add_f64 v[46:47], v[38:39], v[2:3]
	;; [unrolled: 1-line block ×3, first 2 shown]
	v_fma_f64 v[52:53], v[48:49], s[20:21], v[36:37]
	v_add_f64 v[54:55], v[4:5], -v[0:1]
	v_add_f64 v[58:59], v[8:9], -v[12:13]
	v_fma_f64 v[26:27], v[48:49], s[18:19], v[26:27]
	v_fma_f64 v[48:49], v[48:49], s[4:5], v[36:37]
	s_mov_b32 s8, 0x372fe950
	s_mov_b32 s9, 0x3fd3c6ef
	v_add_f64 v[62:63], v[46:47], v[6:7]
	v_fma_f64 v[68:69], v[50:51], -0.5, v[38:39]
	v_add_f64 v[0:1], v[0:1], -v[12:13]
	v_fma_f64 v[12:13], v[34:35], s[16:17], v[52:53]
	v_add_f64 v[50:51], v[54:55], v[58:59]
	v_fma_f64 v[36:37], v[40:41], s[8:9], v[22:23]
	v_fma_f64 v[22:23], v[34:35], s[18:19], v[48:49]
	v_add_f64 v[34:35], v[2:3], v[14:15]
	v_fma_f64 v[46:47], v[40:41], s[8:9], v[26:27]
	v_add_f64 v[26:27], v[62:63], v[10:11]
	v_fma_f64 v[48:49], v[0:1], s[20:21], v[68:69]
	v_add_f64 v[4:5], v[4:5], -v[8:9]
	v_fma_f64 v[40:41], v[50:51], s[8:9], v[12:13]
	v_add_f64 v[8:9], v[20:21], v[28:29]
	v_add_f64 v[12:13], v[2:3], -v[6:7]
	v_add_f64 v[52:53], v[14:15], -v[10:11]
	v_fma_f64 v[50:51], v[50:51], s[8:9], v[22:23]
	v_fma_f64 v[22:23], v[34:35], -0.5, v[38:39]
	v_add_f64 v[34:35], v[26:27], v[14:15]
	v_fma_f64 v[26:27], v[4:5], s[18:19], v[48:49]
	v_add_f64 v[38:39], v[42:43], v[16:17]
	v_fma_f64 v[8:9], v[8:9], -0.5, v[42:43]
	v_add_f64 v[58:59], v[18:19], -v[60:61]
	v_add_f64 v[12:13], v[12:13], v[52:53]
	v_fma_f64 v[48:49], v[0:1], s[4:5], v[68:69]
	v_fma_f64 v[52:53], v[4:5], s[4:5], v[22:23]
	v_add_f64 v[2:3], v[6:7], -v[2:3]
	v_add_f64 v[6:7], v[10:11], -v[14:15]
	v_fma_f64 v[10:11], v[4:5], s[20:21], v[22:23]
	v_add_f64 v[14:15], v[38:39], v[20:21]
	v_fma_f64 v[22:23], v[58:59], s[4:5], v[8:9]
	v_add_f64 v[62:63], v[24:25], -v[30:31]
	v_add_f64 v[38:39], v[16:17], -v[20:21]
	;; [unrolled: 1-line block ×3, first 2 shown]
	v_fma_f64 v[4:5], v[4:5], s[16:17], v[48:49]
	v_add_f64 v[48:49], v[16:17], v[56:57]
	v_fma_f64 v[52:53], v[0:1], s[18:19], v[52:53]
	v_add_f64 v[2:3], v[2:3], v[6:7]
	;; [unrolled: 2-line block ×4, first 2 shown]
	v_fma_f64 v[38:39], v[12:13], s[8:9], v[26:27]
	v_fma_f64 v[22:23], v[48:49], -0.5, v[42:43]
	v_fma_f64 v[48:49], v[12:13], s[8:9], v[4:5]
	v_fma_f64 v[42:43], v[2:3], s[8:9], v[52:53]
	;; [unrolled: 1-line block ×3, first 2 shown]
	v_add_f64 v[0:1], v[24:25], v[30:31]
	v_fma_f64 v[2:3], v[58:59], s[20:21], v[8:9]
	v_add_f64 v[8:9], v[18:19], v[60:61]
	v_add_f64 v[54:55], v[6:7], v[56:57]
	v_fma_f64 v[68:69], v[14:15], s[8:9], v[10:11]
	v_add_f64 v[6:7], v[20:21], -v[16:17]
	v_add_f64 v[10:11], v[28:29], -v[56:57]
	v_add_f64 v[12:13], v[44:45], v[18:19]
	v_fma_f64 v[0:1], v[0:1], -0.5, v[44:45]
	v_add_f64 v[16:17], v[16:17], -v[56:57]
	v_add_f64 v[20:21], v[20:21], -v[28:29]
	v_fma_f64 v[8:9], v[8:9], -0.5, v[44:45]
	v_fma_f64 v[4:5], v[62:63], s[20:21], v[22:23]
	v_add_f64 v[26:27], v[18:19], -v[24:25]
	v_add_f64 v[6:7], v[6:7], v[10:11]
	v_fma_f64 v[10:11], v[62:63], s[4:5], v[22:23]
	v_add_f64 v[12:13], v[12:13], v[24:25]
	v_fma_f64 v[22:23], v[16:17], s[20:21], v[0:1]
	v_add_f64 v[28:29], v[60:61], -v[30:31]
	v_fma_f64 v[0:1], v[16:17], s[4:5], v[0:1]
	v_fma_f64 v[44:45], v[20:21], s[4:5], v[8:9]
	v_add_f64 v[18:19], v[24:25], -v[18:19]
	v_add_f64 v[24:25], v[30:31], -v[60:61]
	v_fma_f64 v[8:9], v[20:21], s[20:21], v[8:9]
	v_fma_f64 v[2:3], v[62:63], s[18:19], v[2:3]
	;; [unrolled: 1-line block ×4, first 2 shown]
	v_add_f64 v[12:13], v[12:13], v[30:31]
	v_fma_f64 v[22:23], v[20:21], s[18:19], v[22:23]
	v_add_f64 v[26:27], v[26:27], v[28:29]
	v_fma_f64 v[0:1], v[20:21], s[16:17], v[0:1]
	v_fma_f64 v[20:21], v[16:17], s[18:19], v[44:45]
	v_add_f64 v[18:19], v[18:19], v[24:25]
	v_fma_f64 v[8:9], v[16:17], s[16:17], v[8:9]
	v_fma_f64 v[58:59], v[14:15], s[8:9], v[2:3]
	;; [unrolled: 1-line block ×4, first 2 shown]
	v_add_f64 v[56:57], v[12:13], v[60:61]
	v_fma_f64 v[70:71], v[26:27], s[8:9], v[22:23]
	v_fma_f64 v[60:61], v[26:27], s[8:9], v[0:1]
	;; [unrolled: 1-line block ×4, first 2 shown]
	s_barrier
	ds_write_b128 v224, v[32:35]
	ds_write_b128 v224, v[36:39] offset:288
	ds_write_b128 v224, v[40:43] offset:576
	;; [unrolled: 1-line block ×4, first 2 shown]
	s_and_saveexec_b64 s[4:5], s[2:3]
	s_cbranch_execz .LBB0_25
; %bb.24:
	v_mul_u32_u24_e32 v0, 0x5a, v230
	v_add_lshl_u32 v0, v0, v240, 4
	ds_write_b128 v0, v[54:57]
	ds_write_b128 v0, v[68:71] offset:288
	ds_write_b128 v0, v[76:79] offset:576
	;; [unrolled: 1-line block ×4, first 2 shown]
.LBB0_25:
	s_or_b64 exec, exec, s[4:5]
	s_waitcnt lgkmcnt(0)
	s_barrier
	s_and_saveexec_b64 s[2:3], s[6:7]
	s_cbranch_execz .LBB0_27
; %bb.26:
	ds_read_b128 v[32:35], v255
	ds_read_b128 v[36:39], v255 offset:1440
	ds_read_b128 v[40:43], v255 offset:2880
	;; [unrolled: 1-line block ×10, first 2 shown]
.LBB0_27:
	s_or_b64 exec, exec, s[2:3]
	s_and_saveexec_b64 s[2:3], s[6:7]
	s_cbranch_execz .LBB0_29
; %bb.28:
	s_waitcnt lgkmcnt(4)
	v_mul_f64 v[2:3], v[122:123], v[70:71]
	v_mul_f64 v[4:5], v[130:131], v[54:55]
	;; [unrolled: 1-line block ×5, first 2 shown]
	s_waitcnt lgkmcnt(3)
	v_mul_f64 v[10:11], v[118:119], v[78:79]
	v_mul_f64 v[14:15], v[86:87], v[36:37]
	s_waitcnt lgkmcnt(0)
	v_mul_f64 v[16:17], v[126:127], v[136:137]
	v_fma_f64 v[44:45], v[120:121], v[68:69], v[2:3]
	v_mul_f64 v[2:3], v[118:119], v[76:77]
	v_fma_f64 v[68:69], v[128:129], v[56:57], -v[4:5]
	v_mul_f64 v[4:5], v[106:107], v[52:53]
	v_fma_f64 v[56:57], v[120:121], v[70:71], -v[6:7]
	v_fma_f64 v[62:63], v[128:129], v[54:55], v[0:1]
	v_mul_f64 v[0:1], v[110:111], v[46:47]
	v_fma_f64 v[80:81], v[108:109], v[46:47], v[8:9]
	v_fma_f64 v[54:55], v[116:117], v[76:77], v[10:11]
	v_fma_f64 v[70:71], v[116:117], v[78:79], -v[2:3]
	v_mul_f64 v[2:3], v[106:107], v[50:51]
	v_fma_f64 v[88:89], v[104:105], v[50:51], v[4:5]
	v_mul_f64 v[4:5], v[114:115], v[72:73]
	v_mul_f64 v[6:7], v[114:115], v[74:75]
	;; [unrolled: 1-line block ×4, first 2 shown]
	v_fma_f64 v[82:83], v[108:109], v[48:49], -v[0:1]
	s_mov_b32 s22, 0xfd768dbf
	v_fma_f64 v[90:91], v[104:105], v[52:53], -v[2:3]
	v_mul_f64 v[2:3], v[66:67], v[42:43]
	v_fma_f64 v[52:53], v[112:113], v[74:75], -v[4:5]
	v_mul_f64 v[4:5], v[134:135], v[60:61]
	v_fma_f64 v[48:49], v[112:113], v[72:73], v[6:7]
	v_fma_f64 v[72:73], v[124:125], v[136:137], v[10:11]
	v_fma_f64 v[10:11], v[84:85], v[38:39], -v[14:15]
	s_mov_b32 s23, 0xbfd207e7
	s_mov_b32 s28, 0xf8bb580b
	v_fma_f64 v[86:87], v[64:65], v[40:41], v[2:3]
	v_fma_f64 v[2:3], v[84:85], v[36:37], v[8:9]
	;; [unrolled: 1-line block ×3, first 2 shown]
	v_mul_f64 v[4:5], v[66:67], v[40:41]
	v_mul_f64 v[8:9], v[134:135], v[58:59]
	v_fma_f64 v[40:41], v[124:125], v[138:139], -v[16:17]
	s_mov_b32 s20, 0x9bcd5057
	s_mov_b32 s29, 0x3fe14ced
	s_mov_b32 s21, 0xbfeeb42a
	v_add_f64 v[16:17], v[2:3], -v[72:73]
	v_add_f64 v[14:15], v[86:87], -v[74:75]
	v_fma_f64 v[4:5], v[64:65], v[42:43], -v[4:5]
	v_fma_f64 v[42:43], v[132:133], v[60:61], -v[8:9]
	v_add_f64 v[8:9], v[10:11], -v[40:41]
	v_add_f64 v[20:21], v[10:11], v[40:41]
	v_add_f64 v[26:27], v[2:3], v[72:73]
	v_add_f64 v[94:95], v[88:89], -v[48:49]
	v_mul_f64 v[18:19], v[16:17], s[22:23]
	v_mul_f64 v[22:23], v[14:15], s[28:29]
	v_add_f64 v[104:105], v[90:91], -v[52:53]
	v_add_f64 v[24:25], v[4:5], -v[42:43]
	v_mul_f64 v[28:29], v[8:9], s[22:23]
	v_add_f64 v[30:31], v[4:5], v[42:43]
	v_add_f64 v[106:107], v[86:87], v[74:75]
	s_mov_b32 s16, 0xbb3a28a1
	v_fma_f64 v[36:37], v[20:21], s[20:21], v[18:19]
	s_mov_b32 s24, 0x8764f0ba
	s_mov_b32 s17, 0xbfe82f19
	v_mul_f64 v[58:59], v[24:25], s[28:29]
	v_fma_f64 v[38:39], v[26:27], s[20:21], -v[28:29]
	s_mov_b32 s25, 0x3feaeb8c
	v_add_f64 v[78:79], v[80:81], -v[54:55]
	v_mul_f64 v[12:13], v[94:95], s[16:17]
	v_add_f64 v[92:93], v[90:91], v[52:53]
	v_fma_f64 v[60:61], v[30:31], s[24:25], v[22:23]
	v_add_f64 v[36:37], v[34:35], v[36:37]
	v_add_f64 v[108:109], v[82:83], -v[70:71]
	v_add_f64 v[110:111], v[88:89], v[48:49]
	v_mul_f64 v[64:65], v[104:105], s[16:17]
	v_fma_f64 v[66:67], v[106:107], s[24:25], -v[58:59]
	v_add_f64 v[38:39], v[32:33], v[38:39]
	v_fma_f64 v[18:19], v[20:21], s[20:21], -v[18:19]
	s_mov_b32 s18, 0x7f775887
	s_mov_b32 s7, 0x3fed1bb4
	;; [unrolled: 1-line block ×4, first 2 shown]
	v_add_f64 v[76:77], v[62:63], -v[44:45]
	v_mul_f64 v[6:7], v[78:79], s[6:7]
	v_add_f64 v[50:51], v[82:83], v[70:71]
	v_fma_f64 v[84:85], v[92:93], s[18:19], v[12:13]
	v_add_f64 v[36:37], v[60:61], v[36:37]
	v_add_f64 v[112:113], v[68:69], -v[56:57]
	v_add_f64 v[114:115], v[80:81], v[54:55]
	v_mul_f64 v[60:61], v[108:109], s[6:7]
	v_fma_f64 v[96:97], v[110:111], s[18:19], -v[64:65]
	v_add_f64 v[38:39], v[66:67], v[38:39]
	v_fma_f64 v[22:23], v[30:31], s[24:25], -v[22:23]
	v_add_f64 v[18:19], v[34:35], v[18:19]
	s_mov_b32 s4, 0x43842ef
	s_mov_b32 s8, 0xd9c712b6
	;; [unrolled: 1-line block ×4, first 2 shown]
	v_add_f64 v[46:47], v[68:69], v[56:57]
	v_mul_f64 v[0:1], v[76:77], s[4:5]
	v_fma_f64 v[66:67], v[50:51], s[8:9], v[6:7]
	v_add_f64 v[36:37], v[84:85], v[36:37]
	v_add_f64 v[116:117], v[62:63], v[44:45]
	v_mul_f64 v[84:85], v[112:113], s[4:5]
	v_fma_f64 v[98:99], v[114:115], s[8:9], -v[60:61]
	v_add_f64 v[38:39], v[96:97], v[38:39]
	v_fma_f64 v[12:13], v[92:93], s[18:19], -v[12:13]
	v_add_f64 v[18:19], v[22:23], v[18:19]
	s_mov_b32 s26, 0x640f44db
	s_mov_b32 s27, 0xbfc2375f
	v_fma_f64 v[22:23], v[46:47], s[26:27], v[0:1]
	v_add_f64 v[36:37], v[66:67], v[36:37]
	v_fma_f64 v[66:67], v[116:117], s[26:27], -v[84:85]
	v_add_f64 v[96:97], v[98:99], v[38:39]
	v_fma_f64 v[6:7], v[50:51], s[8:9], -v[6:7]
	v_add_f64 v[12:13], v[12:13], v[18:19]
	v_fma_f64 v[18:19], v[26:27], s[20:21], v[28:29]
	v_mul_f64 v[28:29], v[16:17], s[16:17]
	s_mov_b32 s35, 0x3fefac9e
	s_mov_b32 s34, s4
	v_add_f64 v[38:39], v[22:23], v[36:37]
	v_add_f64 v[36:37], v[66:67], v[96:97]
	v_fma_f64 v[22:23], v[106:107], s[24:25], v[58:59]
	v_add_f64 v[6:7], v[6:7], v[12:13]
	v_fma_f64 v[12:13], v[116:117], s[26:27], v[84:85]
	v_add_f64 v[18:19], v[32:33], v[18:19]
	v_fma_f64 v[58:59], v[114:115], s[8:9], v[60:61]
	v_mul_f64 v[60:61], v[8:9], s[16:17]
	v_mul_f64 v[66:67], v[14:15], s[34:35]
	v_fma_f64 v[84:85], v[20:21], s[18:19], v[28:29]
	s_mov_b32 s31, 0xbfe14ced
	s_mov_b32 s30, s28
	v_fma_f64 v[64:65], v[110:111], s[18:19], v[64:65]
	v_add_f64 v[18:19], v[22:23], v[18:19]
	v_mul_f64 v[22:23], v[24:25], s[34:35]
	v_fma_f64 v[96:97], v[26:27], s[18:19], -v[60:61]
	v_mul_f64 v[98:99], v[94:95], s[30:31]
	v_fma_f64 v[100:101], v[30:31], s[26:27], v[66:67]
	v_add_f64 v[84:85], v[34:35], v[84:85]
	v_fma_f64 v[28:29], v[20:21], s[18:19], -v[28:29]
	v_mul_f64 v[102:103], v[104:105], s[30:31]
	v_add_f64 v[18:19], v[64:65], v[18:19]
	v_fma_f64 v[118:119], v[106:107], s[26:27], -v[22:23]
	v_add_f64 v[96:97], v[32:33], v[96:97]
	v_mul_f64 v[64:65], v[78:79], s[22:23]
	v_fma_f64 v[120:121], v[92:93], s[24:25], v[98:99]
	v_add_f64 v[84:85], v[100:101], v[84:85]
	v_fma_f64 v[66:67], v[30:31], s[26:27], -v[66:67]
	v_add_f64 v[28:29], v[34:35], v[28:29]
	v_fma_f64 v[0:1], v[46:47], s[26:27], -v[0:1]
	v_mul_f64 v[100:101], v[108:109], s[22:23]
	v_fma_f64 v[122:123], v[110:111], s[24:25], -v[102:103]
	v_add_f64 v[96:97], v[118:119], v[96:97]
	v_mul_f64 v[118:119], v[76:77], s[6:7]
	v_fma_f64 v[124:125], v[50:51], s[20:21], v[64:65]
	v_add_f64 v[84:85], v[120:121], v[84:85]
	v_add_f64 v[18:19], v[58:59], v[18:19]
	v_fma_f64 v[58:59], v[92:93], s[24:25], -v[98:99]
	v_add_f64 v[28:29], v[66:67], v[28:29]
	v_fma_f64 v[98:99], v[26:27], s[18:19], v[60:61]
	v_mul_f64 v[120:121], v[112:113], s[6:7]
	v_fma_f64 v[126:127], v[114:115], s[20:21], -v[100:101]
	v_add_f64 v[96:97], v[122:123], v[96:97]
	v_fma_f64 v[66:67], v[46:47], s[8:9], v[118:119]
	v_add_f64 v[84:85], v[124:125], v[84:85]
	v_add_f64 v[60:61], v[0:1], v[6:7]
	v_fma_f64 v[0:1], v[50:51], s[20:21], -v[64:65]
	v_add_f64 v[6:7], v[58:59], v[28:29]
	v_add_f64 v[58:59], v[12:13], v[18:19]
	v_fma_f64 v[12:13], v[106:107], s[26:27], v[22:23]
	v_add_f64 v[18:19], v[32:33], v[98:99]
	v_fma_f64 v[122:123], v[116:117], s[8:9], -v[120:121]
	v_add_f64 v[96:97], v[126:127], v[96:97]
	v_add_f64 v[66:67], v[66:67], v[84:85]
	v_mul_f64 v[28:29], v[16:17], s[4:5]
	v_add_f64 v[0:1], v[0:1], v[6:7]
	v_fma_f64 v[6:7], v[110:111], s[24:25], v[102:103]
	v_mul_f64 v[84:85], v[8:9], s[4:5]
	v_add_f64 v[12:13], v[12:13], v[18:19]
	s_mov_b32 s37, 0x3fd207e7
	s_mov_b32 s36, s22
	v_add_f64 v[64:65], v[122:123], v[96:97]
	v_fma_f64 v[22:23], v[46:47], s[8:9], -v[118:119]
	v_mul_f64 v[18:19], v[14:15], s[36:37]
	v_fma_f64 v[96:97], v[20:21], s[26:27], v[28:29]
	v_fma_f64 v[98:99], v[114:115], s[20:21], v[100:101]
	v_mul_f64 v[118:119], v[24:25], s[36:37]
	v_fma_f64 v[100:101], v[26:27], s[26:27], -v[84:85]
	v_add_f64 v[6:7], v[6:7], v[12:13]
	v_fma_f64 v[12:13], v[20:21], s[26:27], -v[28:29]
	v_mul_f64 v[28:29], v[94:95], s[6:7]
	v_fma_f64 v[102:103], v[30:31], s[20:21], v[18:19]
	v_add_f64 v[96:97], v[34:35], v[96:97]
	v_mul_f64 v[122:123], v[104:105], s[6:7]
	v_fma_f64 v[124:125], v[106:107], s[20:21], -v[118:119]
	v_add_f64 v[100:101], v[32:33], v[100:101]
	v_fma_f64 v[18:19], v[30:31], s[20:21], -v[18:19]
	v_add_f64 v[12:13], v[34:35], v[12:13]
	v_mul_f64 v[126:127], v[78:79], s[30:31]
	v_fma_f64 v[128:129], v[92:93], s[8:9], v[28:29]
	v_add_f64 v[96:97], v[102:103], v[96:97]
	v_fma_f64 v[102:103], v[110:111], s[8:9], -v[122:123]
	v_fma_f64 v[28:29], v[92:93], s[8:9], -v[28:29]
	v_add_f64 v[100:101], v[124:125], v[100:101]
	v_mul_f64 v[130:131], v[108:109], s[30:31]
	v_add_f64 v[12:13], v[18:19], v[12:13]
	v_mul_f64 v[18:19], v[76:77], s[16:17]
	v_fma_f64 v[124:125], v[50:51], s[24:25], v[126:127]
	v_add_f64 v[96:97], v[128:129], v[96:97]
	v_add_f64 v[6:7], v[98:99], v[6:7]
	s_mov_b32 s7, 0xbfed1bb4
	v_add_f64 v[100:101], v[102:103], v[100:101]
	v_fma_f64 v[102:103], v[50:51], s[24:25], -v[126:127]
	v_add_f64 v[12:13], v[28:29], v[12:13]
	v_fma_f64 v[28:29], v[116:117], s[8:9], v[120:121]
	v_fma_f64 v[120:121], v[46:47], s[18:19], v[18:19]
	v_fma_f64 v[18:19], v[46:47], s[18:19], -v[18:19]
	v_add_f64 v[10:11], v[34:35], v[10:11]
	v_add_f64 v[2:3], v[32:33], v[2:3]
	v_mul_f64 v[128:129], v[112:113], s[16:17]
	v_fma_f64 v[132:133], v[114:115], s[24:25], -v[130:131]
	v_add_f64 v[12:13], v[102:103], v[12:13]
	v_add_f64 v[124:125], v[124:125], v[96:97]
	;; [unrolled: 1-line block ×4, first 2 shown]
	v_mul_f64 v[0:1], v[16:17], s[6:7]
	v_fma_f64 v[6:7], v[26:27], s[26:27], v[84:85]
	v_add_f64 v[4:5], v[10:11], v[4:5]
	v_add_f64 v[2:3], v[2:3], v[86:87]
	;; [unrolled: 1-line block ×3, first 2 shown]
	v_mul_f64 v[12:13], v[8:9], s[6:7]
	v_fma_f64 v[126:127], v[116:117], s[18:19], -v[128:129]
	v_add_f64 v[100:101], v[132:133], v[100:101]
	v_add_f64 v[102:103], v[120:121], v[124:125]
	v_fma_f64 v[18:19], v[106:107], s[20:21], v[118:119]
	v_mul_f64 v[22:23], v[14:15], s[16:17]
	v_fma_f64 v[28:29], v[20:21], s[8:9], v[0:1]
	v_add_f64 v[6:7], v[32:33], v[6:7]
	v_fma_f64 v[120:121], v[110:111], s[8:9], v[122:123]
	v_mul_f64 v[122:123], v[24:25], s[16:17]
	v_fma_f64 v[124:125], v[26:27], s[8:9], -v[12:13]
	v_fma_f64 v[0:1], v[20:21], s[8:9], -v[0:1]
	v_add_f64 v[4:5], v[4:5], v[90:91]
	v_add_f64 v[2:3], v[2:3], v[88:89]
	;; [unrolled: 1-line block ×3, first 2 shown]
	v_fma_f64 v[118:119], v[116:117], s[18:19], v[128:129]
	v_mul_f64 v[126:127], v[94:95], s[36:37]
	v_fma_f64 v[128:129], v[30:31], s[18:19], v[22:23]
	v_add_f64 v[28:29], v[34:35], v[28:29]
	v_add_f64 v[6:7], v[18:19], v[6:7]
	v_fma_f64 v[18:19], v[114:115], s[24:25], v[130:131]
	v_mul_f64 v[130:131], v[104:105], s[36:37]
	v_fma_f64 v[132:133], v[106:107], s[18:19], -v[122:123]
	v_add_f64 v[124:125], v[32:33], v[124:125]
	v_fma_f64 v[22:23], v[30:31], s[18:19], -v[22:23]
	v_add_f64 v[0:1], v[34:35], v[0:1]
	v_add_f64 v[4:5], v[4:5], v[82:83]
	;; [unrolled: 1-line block ×3, first 2 shown]
	v_mul_f64 v[134:135], v[78:79], s[34:35]
	v_fma_f64 v[136:137], v[92:93], s[20:21], v[126:127]
	v_add_f64 v[28:29], v[128:129], v[28:29]
	v_add_f64 v[6:7], v[120:121], v[6:7]
	v_fma_f64 v[128:129], v[110:111], s[20:21], -v[130:131]
	v_add_f64 v[124:125], v[132:133], v[124:125]
	v_mul_f64 v[132:133], v[76:77], s[28:29]
	v_fma_f64 v[126:127], v[92:93], s[20:21], -v[126:127]
	v_fma_f64 v[12:13], v[26:27], s[8:9], v[12:13]
	v_add_f64 v[0:1], v[22:23], v[0:1]
	v_mul_f64 v[16:17], v[16:17], s[30:31]
	v_mul_f64 v[8:9], v[8:9], s[30:31]
	v_add_f64 v[4:5], v[4:5], v[68:69]
	v_add_f64 v[2:3], v[2:3], v[62:63]
	;; [unrolled: 1-line block ×4, first 2 shown]
	v_fma_f64 v[18:19], v[46:47], s[24:25], v[132:133]
	v_fma_f64 v[128:129], v[50:51], s[26:27], -v[134:135]
	v_fma_f64 v[122:123], v[106:107], s[18:19], v[122:123]
	v_add_f64 v[12:13], v[32:33], v[12:13]
	v_add_f64 v[0:1], v[126:127], v[0:1]
	v_fma_f64 v[126:127], v[46:47], s[24:25], -v[132:133]
	v_mul_f64 v[14:15], v[14:15], s[6:7]
	v_fma_f64 v[132:133], v[20:21], s[24:25], v[16:17]
	v_fma_f64 v[16:17], v[20:21], s[24:25], -v[16:17]
	v_mul_f64 v[20:21], v[24:25], s[6:7]
	v_fma_f64 v[24:25], v[26:27], s[24:25], v[8:9]
	v_fma_f64 v[8:9], v[26:27], s[24:25], -v[8:9]
	v_add_f64 v[4:5], v[4:5], v[56:57]
	v_add_f64 v[2:3], v[2:3], v[44:45]
	v_add_f64 v[12:13], v[122:123], v[12:13]
	v_add_f64 v[0:1], v[128:129], v[0:1]
	v_mul_f64 v[122:123], v[94:95], s[4:5]
	v_fma_f64 v[10:11], v[30:31], s[8:9], v[14:15]
	v_add_f64 v[86:87], v[34:35], v[132:133]
	v_mul_f64 v[62:63], v[104:105], s[4:5]
	v_fma_f64 v[14:15], v[30:31], s[8:9], -v[14:15]
	v_add_f64 v[16:17], v[34:35], v[16:17]
	v_fma_f64 v[26:27], v[106:107], s[8:9], v[20:21]
	v_add_f64 v[24:25], v[32:33], v[24:25]
	v_fma_f64 v[20:21], v[106:107], s[8:9], -v[20:21]
	v_add_f64 v[8:9], v[32:33], v[8:9]
	v_add_f64 v[4:5], v[4:5], v[70:71]
	;; [unrolled: 1-line block ×4, first 2 shown]
	v_mul_f64 v[0:1], v[78:79], s[16:17]
	v_fma_f64 v[78:79], v[92:93], s[26:27], v[122:123]
	v_add_f64 v[10:11], v[10:11], v[86:87]
	v_mul_f64 v[80:81], v[108:109], s[16:17]
	v_fma_f64 v[30:31], v[92:93], s[26:27], -v[122:123]
	v_add_f64 v[14:15], v[14:15], v[16:17]
	v_fma_f64 v[16:17], v[110:111], s[26:27], v[62:63]
	v_add_f64 v[24:25], v[26:27], v[24:25]
	v_mul_f64 v[120:121], v[108:109], s[34:35]
	v_fma_f64 v[130:131], v[110:111], s[20:21], v[130:131]
	v_fma_f64 v[26:27], v[110:111], s[26:27], -v[62:63]
	v_add_f64 v[8:9], v[20:21], v[8:9]
	v_add_f64 v[4:5], v[4:5], v[52:53]
	;; [unrolled: 1-line block ×3, first 2 shown]
	v_mul_f64 v[76:77], v[76:77], s[22:23]
	v_fma_f64 v[88:89], v[50:51], s[18:19], v[0:1]
	v_add_f64 v[10:11], v[78:79], v[10:11]
	v_mul_f64 v[78:79], v[112:113], s[22:23]
	v_fma_f64 v[0:1], v[50:51], s[18:19], -v[0:1]
	v_add_f64 v[14:15], v[30:31], v[14:15]
	v_fma_f64 v[20:21], v[114:115], s[18:19], v[80:81]
	v_add_f64 v[16:17], v[16:17], v[24:25]
	v_add_f64 v[28:29], v[136:137], v[28:29]
	v_mul_f64 v[136:137], v[112:113], s[28:29]
	v_fma_f64 v[140:141], v[114:115], s[26:27], -v[120:121]
	v_fma_f64 v[120:121], v[114:115], s[26:27], v[120:121]
	v_add_f64 v[12:13], v[130:131], v[12:13]
	v_fma_f64 v[138:139], v[50:51], s[26:27], v[134:135]
	v_fma_f64 v[24:25], v[114:115], s[18:19], -v[80:81]
	v_add_f64 v[8:9], v[26:27], v[8:9]
	v_add_f64 v[4:5], v[4:5], v[42:43]
	;; [unrolled: 1-line block ×3, first 2 shown]
	v_fma_f64 v[26:27], v[46:47], s[20:21], -v[76:77]
	v_add_f64 v[0:1], v[0:1], v[14:15]
	v_fma_f64 v[14:15], v[116:117], s[20:21], v[78:79]
	v_add_f64 v[16:17], v[20:21], v[16:17]
	v_fma_f64 v[86:87], v[116:117], s[24:25], v[136:137]
	v_add_f64 v[12:13], v[120:121], v[12:13]
	v_add_f64 v[22:23], v[138:139], v[28:29]
	v_fma_f64 v[28:29], v[116:117], s[24:25], -v[136:137]
	v_add_f64 v[124:125], v[140:141], v[124:125]
	v_fma_f64 v[20:21], v[46:47], s[20:21], v[76:77]
	v_add_f64 v[10:11], v[88:89], v[10:11]
	v_fma_f64 v[30:31], v[116:117], s[20:21], -v[78:79]
	v_add_f64 v[8:9], v[24:25], v[8:9]
	v_add_f64 v[42:43], v[4:5], v[40:41]
	;; [unrolled: 1-line block ×11, first 2 shown]
	ds_write_b128 v255, v[40:43]
	ds_write_b128 v255, v[32:35] offset:1440
	ds_write_b128 v255, v[92:95] offset:2880
	;; [unrolled: 1-line block ×10, first 2 shown]
.LBB0_29:
	s_or_b64 exec, exec, s[2:3]
	s_waitcnt lgkmcnt(0)
	s_barrier
	ds_read_b128 v[32:35], v255
	ds_read_b128 v[36:39], v255 offset:1760
	buffer_load_dword v9, off, s[52:55], 0 offset:112 ; 4-byte Folded Reload
	buffer_load_dword v10, off, s[52:55], 0 offset:116 ; 4-byte Folded Reload
	;; [unrolled: 1-line block ×4, first 2 shown]
	v_mad_u64_u32 v[0:1], s[2:3], s14, v239, 0
	ds_read_b128 v[28:31], v255 offset:7920
	ds_read_b128 v[40:43], v255 offset:9680
	v_mad_u64_u32 v[7:8], s[2:3], s12, v180, 0
	s_mul_hi_u32 s7, s12, 0xfffffe7f
	s_mul_i32 s6, s13, 0xfffffe7f
	s_sub_i32 s7, s7, s12
	s_add_i32 s7, s7, s6
	s_mul_i32 s6, s12, 0xfffffe7f
	s_lshl_b64 s[6:7], s[6:7], 4
	v_mov_b32_e32 v23, s7
	s_waitcnt vmcnt(0) lgkmcnt(3)
	v_mul_f64 v[2:3], v[11:12], v[34:35]
	v_mad_u64_u32 v[4:5], s[2:3], s15, v239, v[1:2]
	v_mul_f64 v[5:6], v[11:12], v[32:33]
	buffer_load_dword v11, off, s[52:55], 0 ; 4-byte Folded Reload
	buffer_load_dword v12, off, s[52:55], 0 offset:4 ; 4-byte Folded Reload
	buffer_load_dword v13, off, s[52:55], 0 offset:8 ; 4-byte Folded Reload
	;; [unrolled: 1-line block ×3, first 2 shown]
	v_fma_f64 v[2:3], v[9:10], v[32:33], v[2:3]
	v_mov_b32_e32 v1, v4
	s_mov_b32 s2, 0xb37565e2
	s_mov_b32 s3, 0x3f508cab
	v_lshlrev_b64 v[0:1], 4, v[0:1]
	v_fma_f64 v[4:5], v[9:10], v[34:35], -v[5:6]
	v_mov_b32_e32 v6, v8
	v_mul_f64 v[32:33], v[2:3], s[2:3]
	v_mad_u64_u32 v[8:9], s[4:5], s13, v180, v[6:7]
	v_mov_b32_e32 v6, s11
	v_add_co_u32_e32 v9, vcc, s10, v0
	v_mul_f64 v[34:35], v[4:5], s[2:3]
	v_addc_co_u32_e32 v10, vcc, v6, v1, vcc
	s_mul_i32 s4, s13, 0x1ef
	s_mul_hi_u32 s5, s12, 0x1ef
	s_add_i32 s5, s5, s4
	s_mul_i32 s4, s12, 0x1ef
	s_lshl_b64 s[4:5], s[4:5], 4
	v_mov_b32_e32 v22, s5
	s_waitcnt vmcnt(0) lgkmcnt(1)
	v_mul_f64 v[2:3], v[13:14], v[30:31]
	v_mul_f64 v[4:5], v[13:14], v[28:29]
	v_fma_f64 v[0:1], v[11:12], v[28:29], v[2:3]
	v_lshlrev_b64 v[2:3], 4, v[7:8]
	v_fma_f64 v[4:5], v[11:12], v[30:31], -v[4:5]
	v_add_co_u32_e32 v6, vcc, v9, v2
	v_addc_co_u32_e32 v7, vcc, v10, v3, vcc
	global_store_dwordx4 v[6:7], v[32:35], off
	buffer_load_dword v12, off, s[52:55], 0 offset:64 ; 4-byte Folded Reload
	buffer_load_dword v13, off, s[52:55], 0 offset:68 ; 4-byte Folded Reload
	;; [unrolled: 1-line block ×4, first 2 shown]
	v_mul_f64 v[0:1], v[0:1], s[2:3]
	v_mul_f64 v[2:3], v[4:5], s[2:3]
	v_add_co_u32_e32 v6, vcc, s4, v6
	v_addc_co_u32_e32 v7, vcc, v7, v22, vcc
	global_store_dwordx4 v[6:7], v[0:3], off
	v_add_co_u32_e32 v6, vcc, s6, v6
	v_addc_co_u32_e32 v7, vcc, v7, v23, vcc
	s_waitcnt vmcnt(1)
	v_mul_f64 v[8:9], v[14:15], v[38:39]
	v_mul_f64 v[10:11], v[14:15], v[36:37]
	v_fma_f64 v[4:5], v[12:13], v[36:37], v[8:9]
	v_fma_f64 v[8:9], v[12:13], v[38:39], -v[10:11]
	buffer_load_dword v10, off, s[52:55], 0 offset:96 ; 4-byte Folded Reload
	buffer_load_dword v11, off, s[52:55], 0 offset:100 ; 4-byte Folded Reload
	;; [unrolled: 1-line block ×4, first 2 shown]
	ds_read_b128 v[16:19], v255 offset:3520
	ds_read_b128 v[24:27], v255 offset:5280
	buffer_load_dword v32, off, s[52:55], 0 offset:32 ; 4-byte Folded Reload
	buffer_load_dword v33, off, s[52:55], 0 offset:36 ; 4-byte Folded Reload
	;; [unrolled: 1-line block ×4, first 2 shown]
	ds_read_b128 v[28:31], v255 offset:11440
	v_mul_f64 v[0:1], v[4:5], s[2:3]
	v_mul_f64 v[2:3], v[8:9], s[2:3]
	global_store_dwordx4 v[6:7], v[0:3], off
	v_add_co_u32_e32 v6, vcc, s4, v6
	v_addc_co_u32_e32 v7, vcc, v7, v22, vcc
	s_waitcnt vmcnt(5) lgkmcnt(3)
	v_mul_f64 v[4:5], v[12:13], v[42:43]
	v_mul_f64 v[8:9], v[12:13], v[40:41]
	s_waitcnt vmcnt(1) lgkmcnt(2)
	v_mul_f64 v[12:13], v[34:35], v[16:17]
	v_fma_f64 v[4:5], v[10:11], v[40:41], v[4:5]
	v_fma_f64 v[8:9], v[10:11], v[42:43], -v[8:9]
	v_mul_f64 v[10:11], v[34:35], v[18:19]
	v_fma_f64 v[12:13], v[32:33], v[18:19], -v[12:13]
	v_mul_f64 v[0:1], v[4:5], s[2:3]
	v_mul_f64 v[2:3], v[8:9], s[2:3]
	v_fma_f64 v[4:5], v[32:33], v[16:17], v[10:11]
	ds_read_b128 v[8:11], v255 offset:13200
	buffer_load_dword v18, off, s[52:55], 0 offset:16 ; 4-byte Folded Reload
	buffer_load_dword v19, off, s[52:55], 0 offset:20 ; 4-byte Folded Reload
	;; [unrolled: 1-line block ×4, first 2 shown]
	s_waitcnt vmcnt(0) lgkmcnt(1)
	v_mul_f64 v[14:15], v[20:21], v[30:31]
	v_mul_f64 v[16:17], v[20:21], v[28:29]
	global_store_dwordx4 v[6:7], v[0:3], off
	v_add_co_u32_e32 v6, vcc, s6, v6
	v_mul_f64 v[0:1], v[4:5], s[2:3]
	v_mul_f64 v[2:3], v[12:13], s[2:3]
	v_addc_co_u32_e32 v7, vcc, v7, v23, vcc
	v_fma_f64 v[4:5], v[18:19], v[28:29], v[14:15]
	v_fma_f64 v[12:13], v[18:19], v[30:31], -v[16:17]
	buffer_load_dword v28, off, s[52:55], 0 offset:48 ; 4-byte Folded Reload
	buffer_load_dword v29, off, s[52:55], 0 offset:52 ; 4-byte Folded Reload
	;; [unrolled: 1-line block ×4, first 2 shown]
	s_waitcnt vmcnt(0)
	v_mul_f64 v[14:15], v[30:31], v[26:27]
	v_mul_f64 v[16:17], v[30:31], v[24:25]
	buffer_load_dword v30, off, s[52:55], 0 offset:80 ; 4-byte Folded Reload
	buffer_load_dword v31, off, s[52:55], 0 offset:84 ; 4-byte Folded Reload
	buffer_load_dword v32, off, s[52:55], 0 offset:88 ; 4-byte Folded Reload
	buffer_load_dword v33, off, s[52:55], 0 offset:92 ; 4-byte Folded Reload
	s_waitcnt vmcnt(0) lgkmcnt(0)
	v_mul_f64 v[18:19], v[32:33], v[10:11]
	v_mul_f64 v[20:21], v[32:33], v[8:9]
	global_store_dwordx4 v[6:7], v[0:3], off
	v_fma_f64 v[8:9], v[30:31], v[8:9], v[18:19]
	v_mul_f64 v[0:1], v[4:5], s[2:3]
	v_mul_f64 v[2:3], v[12:13], s[2:3]
	v_fma_f64 v[4:5], v[28:29], v[24:25], v[14:15]
	v_fma_f64 v[12:13], v[28:29], v[26:27], -v[16:17]
	v_fma_f64 v[10:11], v[30:31], v[10:11], -v[20:21]
	v_add_co_u32_e32 v14, vcc, s4, v6
	v_addc_co_u32_e32 v15, vcc, v7, v22, vcc
	v_mul_f64 v[8:9], v[8:9], s[2:3]
	v_mul_f64 v[4:5], v[4:5], s[2:3]
	;; [unrolled: 1-line block ×4, first 2 shown]
	global_store_dwordx4 v[14:15], v[0:3], off
	s_nop 0
	v_add_co_u32_e32 v0, vcc, s6, v14
	v_addc_co_u32_e32 v1, vcc, v15, v23, vcc
	global_store_dwordx4 v[0:1], v[4:7], off
	v_add_co_u32_e32 v0, vcc, s4, v0
	v_addc_co_u32_e32 v1, vcc, v1, v22, vcc
	global_store_dwordx4 v[0:1], v[8:11], off
	s_and_b64 exec, exec, s[0:1]
	s_cbranch_execz .LBB0_31
; %bb.30:
	v_add_co_u32_e32 v2, vcc, 0x1000, v223
	v_addc_co_u32_e32 v3, vcc, 0, v229, vcc
	s_movk_i32 s0, 0x3000
	v_add_co_u32_e32 v6, vcc, s0, v223
	global_load_dwordx4 v[2:5], v[2:3], off offset:2944
	v_addc_co_u32_e32 v7, vcc, 0, v229, vcc
	global_load_dwordx4 v[6:9], v[6:7], off offset:2672
	ds_read_b128 v[10:13], v255 offset:7040
	ds_read_b128 v[14:17], v255 offset:14960
	v_add_co_u32_e32 v0, vcc, s6, v0
	s_waitcnt vmcnt(1) lgkmcnt(1)
	v_mul_f64 v[18:19], v[12:13], v[4:5]
	v_mul_f64 v[4:5], v[10:11], v[4:5]
	s_waitcnt vmcnt(0) lgkmcnt(0)
	v_mul_f64 v[20:21], v[16:17], v[8:9]
	v_mul_f64 v[8:9], v[14:15], v[8:9]
	v_fma_f64 v[10:11], v[10:11], v[2:3], v[18:19]
	v_fma_f64 v[4:5], v[2:3], v[12:13], -v[4:5]
	v_fma_f64 v[12:13], v[14:15], v[6:7], v[20:21]
	v_fma_f64 v[8:9], v[6:7], v[16:17], -v[8:9]
	v_mov_b32_e32 v14, s7
	v_addc_co_u32_e32 v1, vcc, v1, v14, vcc
	v_mul_f64 v[2:3], v[10:11], s[2:3]
	v_mul_f64 v[4:5], v[4:5], s[2:3]
	v_mov_b32_e32 v15, s5
	v_mul_f64 v[6:7], v[12:13], s[2:3]
	v_mul_f64 v[8:9], v[8:9], s[2:3]
	v_add_co_u32_e32 v10, vcc, s4, v0
	v_addc_co_u32_e32 v11, vcc, v1, v15, vcc
	global_store_dwordx4 v[0:1], v[2:5], off
	global_store_dwordx4 v[10:11], v[6:9], off
.LBB0_31:
	s_endpgm
	.section	.rodata,"a",@progbits
	.p2align	6, 0x0
	.amdhsa_kernel bluestein_single_back_len990_dim1_dp_op_CI_CI
		.amdhsa_group_segment_fixed_size 15840
		.amdhsa_private_segment_fixed_size 564
		.amdhsa_kernarg_size 104
		.amdhsa_user_sgpr_count 6
		.amdhsa_user_sgpr_private_segment_buffer 1
		.amdhsa_user_sgpr_dispatch_ptr 0
		.amdhsa_user_sgpr_queue_ptr 0
		.amdhsa_user_sgpr_kernarg_segment_ptr 1
		.amdhsa_user_sgpr_dispatch_id 0
		.amdhsa_user_sgpr_flat_scratch_init 0
		.amdhsa_user_sgpr_private_segment_size 0
		.amdhsa_uses_dynamic_stack 0
		.amdhsa_system_sgpr_private_segment_wavefront_offset 1
		.amdhsa_system_sgpr_workgroup_id_x 1
		.amdhsa_system_sgpr_workgroup_id_y 0
		.amdhsa_system_sgpr_workgroup_id_z 0
		.amdhsa_system_sgpr_workgroup_info 0
		.amdhsa_system_vgpr_workitem_id 0
		.amdhsa_next_free_vgpr 256
		.amdhsa_next_free_sgpr 56
		.amdhsa_reserve_vcc 1
		.amdhsa_reserve_flat_scratch 0
		.amdhsa_float_round_mode_32 0
		.amdhsa_float_round_mode_16_64 0
		.amdhsa_float_denorm_mode_32 3
		.amdhsa_float_denorm_mode_16_64 3
		.amdhsa_dx10_clamp 1
		.amdhsa_ieee_mode 1
		.amdhsa_fp16_overflow 0
		.amdhsa_exception_fp_ieee_invalid_op 0
		.amdhsa_exception_fp_denorm_src 0
		.amdhsa_exception_fp_ieee_div_zero 0
		.amdhsa_exception_fp_ieee_overflow 0
		.amdhsa_exception_fp_ieee_underflow 0
		.amdhsa_exception_fp_ieee_inexact 0
		.amdhsa_exception_int_div_zero 0
	.end_amdhsa_kernel
	.text
.Lfunc_end0:
	.size	bluestein_single_back_len990_dim1_dp_op_CI_CI, .Lfunc_end0-bluestein_single_back_len990_dim1_dp_op_CI_CI
                                        ; -- End function
	.section	.AMDGPU.csdata,"",@progbits
; Kernel info:
; codeLenInByte = 19020
; NumSgprs: 60
; NumVgprs: 256
; ScratchSize: 564
; MemoryBound: 0
; FloatMode: 240
; IeeeMode: 1
; LDSByteSize: 15840 bytes/workgroup (compile time only)
; SGPRBlocks: 7
; VGPRBlocks: 63
; NumSGPRsForWavesPerEU: 60
; NumVGPRsForWavesPerEU: 256
; Occupancy: 1
; WaveLimiterHint : 1
; COMPUTE_PGM_RSRC2:SCRATCH_EN: 1
; COMPUTE_PGM_RSRC2:USER_SGPR: 6
; COMPUTE_PGM_RSRC2:TRAP_HANDLER: 0
; COMPUTE_PGM_RSRC2:TGID_X_EN: 1
; COMPUTE_PGM_RSRC2:TGID_Y_EN: 0
; COMPUTE_PGM_RSRC2:TGID_Z_EN: 0
; COMPUTE_PGM_RSRC2:TIDIG_COMP_CNT: 0
	.type	__hip_cuid_3c4a07ea88bd052c,@object ; @__hip_cuid_3c4a07ea88bd052c
	.section	.bss,"aw",@nobits
	.globl	__hip_cuid_3c4a07ea88bd052c
__hip_cuid_3c4a07ea88bd052c:
	.byte	0                               ; 0x0
	.size	__hip_cuid_3c4a07ea88bd052c, 1

	.ident	"AMD clang version 19.0.0git (https://github.com/RadeonOpenCompute/llvm-project roc-6.4.0 25133 c7fe45cf4b819c5991fe208aaa96edf142730f1d)"
	.section	".note.GNU-stack","",@progbits
	.addrsig
	.addrsig_sym __hip_cuid_3c4a07ea88bd052c
	.amdgpu_metadata
---
amdhsa.kernels:
  - .args:
      - .actual_access:  read_only
        .address_space:  global
        .offset:         0
        .size:           8
        .value_kind:     global_buffer
      - .actual_access:  read_only
        .address_space:  global
        .offset:         8
        .size:           8
        .value_kind:     global_buffer
      - .actual_access:  read_only
        .address_space:  global
        .offset:         16
        .size:           8
        .value_kind:     global_buffer
      - .actual_access:  read_only
        .address_space:  global
        .offset:         24
        .size:           8
        .value_kind:     global_buffer
      - .actual_access:  read_only
        .address_space:  global
        .offset:         32
        .size:           8
        .value_kind:     global_buffer
      - .offset:         40
        .size:           8
        .value_kind:     by_value
      - .address_space:  global
        .offset:         48
        .size:           8
        .value_kind:     global_buffer
      - .address_space:  global
        .offset:         56
        .size:           8
        .value_kind:     global_buffer
      - .address_space:  global
        .offset:         64
        .size:           8
        .value_kind:     global_buffer
      - .address_space:  global
        .offset:         72
        .size:           8
        .value_kind:     global_buffer
      - .offset:         80
        .size:           4
        .value_kind:     by_value
      - .address_space:  global
        .offset:         88
        .size:           8
        .value_kind:     global_buffer
      - .address_space:  global
        .offset:         96
        .size:           8
        .value_kind:     global_buffer
    .group_segment_fixed_size: 15840
    .kernarg_segment_align: 8
    .kernarg_segment_size: 104
    .language:       OpenCL C
    .language_version:
      - 2
      - 0
    .max_flat_workgroup_size: 110
    .name:           bluestein_single_back_len990_dim1_dp_op_CI_CI
    .private_segment_fixed_size: 564
    .sgpr_count:     60
    .sgpr_spill_count: 0
    .symbol:         bluestein_single_back_len990_dim1_dp_op_CI_CI.kd
    .uniform_work_group_size: 1
    .uses_dynamic_stack: false
    .vgpr_count:     256
    .vgpr_spill_count: 140
    .wavefront_size: 64
amdhsa.target:   amdgcn-amd-amdhsa--gfx906
amdhsa.version:
  - 1
  - 2
...

	.end_amdgpu_metadata
